;; amdgpu-corpus repo=ROCm/rocFFT kind=compiled arch=gfx906 opt=O3
	.text
	.amdgcn_target "amdgcn-amd-amdhsa--gfx906"
	.amdhsa_code_object_version 6
	.protected	fft_rtc_fwd_len169_factors_13_13_wgs_156_tpt_13_sp_ip_CI_sbcc_twdbase6_3step ; -- Begin function fft_rtc_fwd_len169_factors_13_13_wgs_156_tpt_13_sp_ip_CI_sbcc_twdbase6_3step
	.globl	fft_rtc_fwd_len169_factors_13_13_wgs_156_tpt_13_sp_ip_CI_sbcc_twdbase6_3step
	.p2align	8
	.type	fft_rtc_fwd_len169_factors_13_13_wgs_156_tpt_13_sp_ip_CI_sbcc_twdbase6_3step,@function
fft_rtc_fwd_len169_factors_13_13_wgs_156_tpt_13_sp_ip_CI_sbcc_twdbase6_3step: ; @fft_rtc_fwd_len169_factors_13_13_wgs_156_tpt_13_sp_ip_CI_sbcc_twdbase6_3step
; %bb.0:
	s_load_dwordx2 s[2:3], s[4:5], 0x58
	s_load_dwordx2 s[20:21], s[4:5], 0x0
	s_load_dwordx8 s[8:15], s[4:5], 0x8
	s_movk_i32 s0, 0xc0
	v_cmp_gt_u32_e32 vcc, s0, v0
	s_and_saveexec_b64 s[4:5], vcc
	s_cbranch_execz .LBB0_3
; %bb.1:
	v_add_co_u32_e32 v1, vcc, 0xffffff64, v0
	v_lshlrev_b32_e32 v5, 3, v0
	v_addc_co_u32_e64 v2, s[0:1], 0, -1, vcc
	s_waitcnt lgkmcnt(0)
	v_mov_b32_e32 v4, s9
	v_add_co_u32_e32 v3, vcc, s8, v5
	v_add_u32_e32 v5, 0, v5
	v_addc_co_u32_e32 v4, vcc, 0, v4, vcc
	v_add_u32_e32 v5, 0x3f60, v5
	s_mov_b64 s[8:9], 0
.LBB0_2:                                ; =>This Inner Loop Header: Depth=1
	global_load_dwordx2 v[6:7], v[3:4], off
	v_add_co_u32_e32 v1, vcc, 0x9c, v1
	v_addc_co_u32_e32 v2, vcc, 0, v2, vcc
	v_cmp_lt_u64_e64 s[0:1], 35, v[1:2]
	v_add_co_u32_e32 v3, vcc, 0x4e0, v3
	v_addc_co_u32_e32 v4, vcc, 0, v4, vcc
	s_or_b64 s[8:9], s[0:1], s[8:9]
	s_waitcnt vmcnt(0)
	ds_write_b64 v5, v[6:7]
	v_add_u32_e32 v5, 0x4e0, v5
	s_andn2_b64 exec, exec, s[8:9]
	s_cbranch_execnz .LBB0_2
.LBB0_3:
	s_or_b64 exec, exec, s[4:5]
	s_waitcnt lgkmcnt(0)
	s_load_dwordx2 s[8:9], s[12:13], 0x8
	s_mov_b32 s7, 0
	s_waitcnt lgkmcnt(0)
	s_add_u32 s0, s8, -1
	s_addc_u32 s1, s9, -1
	s_add_u32 s4, 0, 0x55540000
	s_addc_u32 s5, 0, 0x55
	s_mul_hi_u32 s17, s4, -12
	s_add_i32 s5, s5, 0x15555500
	s_sub_i32 s17, s17, s4
	s_mul_i32 s22, s5, -12
	s_mul_i32 s16, s4, -12
	s_add_i32 s17, s17, s22
	s_mul_hi_u32 s18, s5, s16
	s_mul_i32 s19, s5, s16
	s_mul_i32 s23, s4, s17
	s_mul_hi_u32 s16, s4, s16
	s_mul_hi_u32 s22, s4, s17
	s_add_u32 s16, s16, s23
	s_addc_u32 s22, 0, s22
	s_add_u32 s16, s16, s19
	s_mul_hi_u32 s23, s5, s17
	s_addc_u32 s16, s22, s18
	s_addc_u32 s18, s23, 0
	s_mul_i32 s17, s5, s17
	s_add_u32 s16, s16, s17
	v_mov_b32_e32 v1, s16
	s_addc_u32 s17, 0, s18
	v_add_co_u32_e32 v1, vcc, s4, v1
	s_cmp_lg_u64 vcc, 0
	s_addc_u32 s4, s5, s17
	v_readfirstlane_b32 s17, v1
	s_mul_i32 s16, s0, s4
	s_mul_hi_u32 s18, s0, s17
	s_mul_hi_u32 s5, s0, s4
	s_add_u32 s16, s18, s16
	s_addc_u32 s5, 0, s5
	s_mul_hi_u32 s19, s1, s17
	s_mul_i32 s17, s1, s17
	s_add_u32 s16, s16, s17
	s_mul_hi_u32 s18, s1, s4
	s_addc_u32 s5, s5, s19
	s_addc_u32 s16, s18, 0
	s_mul_i32 s4, s1, s4
	s_add_u32 s4, s5, s4
	s_addc_u32 s5, 0, s16
	s_add_u32 s16, s4, 1
	s_addc_u32 s17, s5, 0
	s_add_u32 s18, s4, 2
	s_mul_i32 s22, s5, 12
	s_mul_hi_u32 s23, s4, 12
	s_addc_u32 s19, s5, 0
	s_add_i32 s23, s23, s22
	s_mul_i32 s22, s4, 12
	v_mov_b32_e32 v1, s22
	v_sub_co_u32_e32 v1, vcc, s0, v1
	s_cmp_lg_u64 vcc, 0
	s_subb_u32 s0, s1, s23
	v_subrev_co_u32_e32 v2, vcc, 12, v1
	s_cmp_lg_u64 vcc, 0
	s_subb_u32 s1, s0, 0
	v_readfirstlane_b32 s22, v2
	s_cmp_gt_u32 s22, 11
	s_cselect_b32 s22, -1, 0
	s_cmp_eq_u32 s1, 0
	s_cselect_b32 s1, s22, -1
	s_cmp_lg_u32 s1, 0
	s_cselect_b32 s1, s18, s16
	s_cselect_b32 s16, s19, s17
	v_readfirstlane_b32 s17, v1
	s_cmp_gt_u32 s17, 11
	s_cselect_b32 s17, -1, 0
	s_cmp_eq_u32 s0, 0
	s_cselect_b32 s0, s17, -1
	s_cmp_lg_u32 s0, 0
	s_cselect_b32 s1, s1, s4
	s_cselect_b32 s0, s16, s5
	s_add_u32 s4, s1, 1
	s_addc_u32 s5, s0, 0
	v_mov_b32_e32 v1, s4
	v_mov_b32_e32 v2, s5
	v_cmp_lt_u64_e32 vcc, s[6:7], v[1:2]
	s_mov_b64 s[22:23], 0
	s_cbranch_vccnz .LBB0_5
; %bb.4:
	v_cvt_f32_u32_e32 v1, s4
	s_sub_i32 s0, 0, s4
	s_mov_b32 s23, s7
	v_rcp_iflag_f32_e32 v1, v1
	v_mul_f32_e32 v1, 0x4f7ffffe, v1
	v_cvt_u32_f32_e32 v1, v1
	v_readfirstlane_b32 s1, v1
	s_mul_i32 s0, s0, s1
	s_mul_hi_u32 s0, s1, s0
	s_add_i32 s1, s1, s0
	s_mul_hi_u32 s0, s6, s1
	s_mul_i32 s16, s0, s4
	s_sub_i32 s16, s6, s16
	s_add_i32 s1, s0, 1
	s_sub_i32 s17, s16, s4
	s_cmp_ge_u32 s16, s4
	s_cselect_b32 s0, s1, s0
	s_cselect_b32 s16, s17, s16
	s_add_i32 s1, s0, 1
	s_cmp_ge_u32 s16, s4
	s_cselect_b32 s22, s1, s0
.LBB0_5:
	s_mul_i32 s0, s22, s5
	s_mul_hi_u32 s1, s22, s4
	s_load_dwordx4 s[16:19], s[14:15], 0x0
	s_add_i32 s1, s1, s0
	s_mul_i32 s0, s22, s4
	s_sub_u32 s36, s6, s0
	s_subb_u32 s0, 0, s1
	s_mul_i32 s0, s0, 12
	s_mul_hi_u32 s33, s36, 12
	s_add_i32 s33, s33, s0
	s_mul_i32 s36, s36, 12
	s_waitcnt lgkmcnt(0)
	s_mul_i32 s0, s18, s33
	s_mul_hi_u32 s1, s18, s36
	s_add_i32 s0, s1, s0
	s_mul_i32 s1, s19, s36
	s_add_i32 s37, s0, s1
	v_cmp_lt_u64_e64 s[0:1], s[10:11], 3
	s_mul_i32 s38, s18, s36
	s_and_b64 vcc, exec, s[0:1]
	s_cbranch_vccnz .LBB0_15
; %bb.6:
	s_add_u32 s24, s14, 16
	s_addc_u32 s25, s15, 0
	s_add_u32 s12, s12, 16
	v_mov_b32_e32 v1, s10
	s_addc_u32 s13, s13, 0
	s_mov_b64 s[26:27], 2
	s_mov_b32 s28, 0
	v_mov_b32_e32 v2, s11
.LBB0_7:                                ; =>This Inner Loop Header: Depth=1
	s_load_dwordx2 s[30:31], s[12:13], 0x0
	s_waitcnt lgkmcnt(0)
	s_or_b64 s[0:1], s[22:23], s[30:31]
	s_mov_b32 s29, s1
	s_cmp_lg_u64 s[28:29], 0
	s_cbranch_scc0 .LBB0_12
; %bb.8:                                ;   in Loop: Header=BB0_7 Depth=1
	v_cvt_f32_u32_e32 v3, s30
	v_cvt_f32_u32_e32 v4, s31
	s_sub_u32 s0, 0, s30
	s_subb_u32 s1, 0, s31
	v_mac_f32_e32 v3, 0x4f800000, v4
	v_rcp_f32_e32 v3, v3
	v_mul_f32_e32 v3, 0x5f7ffffc, v3
	v_mul_f32_e32 v4, 0x2f800000, v3
	v_trunc_f32_e32 v4, v4
	v_mac_f32_e32 v3, 0xcf800000, v4
	v_cvt_u32_f32_e32 v4, v4
	v_cvt_u32_f32_e32 v3, v3
	v_readfirstlane_b32 s29, v4
	v_readfirstlane_b32 s34, v3
	s_mul_i32 s35, s0, s29
	s_mul_hi_u32 s40, s0, s34
	s_mul_i32 s39, s1, s34
	s_add_i32 s35, s40, s35
	s_mul_i32 s41, s0, s34
	s_add_i32 s35, s35, s39
	s_mul_hi_u32 s39, s34, s35
	s_mul_i32 s40, s34, s35
	s_mul_hi_u32 s34, s34, s41
	s_add_u32 s34, s34, s40
	s_addc_u32 s39, 0, s39
	s_mul_hi_u32 s42, s29, s41
	s_mul_i32 s41, s29, s41
	s_add_u32 s34, s34, s41
	s_mul_hi_u32 s40, s29, s35
	s_addc_u32 s34, s39, s42
	s_addc_u32 s39, s40, 0
	s_mul_i32 s35, s29, s35
	s_add_u32 s34, s34, s35
	s_addc_u32 s35, 0, s39
	v_add_co_u32_e32 v3, vcc, s34, v3
	s_cmp_lg_u64 vcc, 0
	s_addc_u32 s29, s29, s35
	v_readfirstlane_b32 s35, v3
	s_mul_i32 s34, s0, s29
	s_mul_hi_u32 s39, s0, s35
	s_add_i32 s34, s39, s34
	s_mul_i32 s1, s1, s35
	s_add_i32 s34, s34, s1
	s_mul_i32 s0, s0, s35
	s_mul_hi_u32 s39, s29, s0
	s_mul_i32 s40, s29, s0
	s_mul_i32 s42, s35, s34
	s_mul_hi_u32 s0, s35, s0
	s_mul_hi_u32 s41, s35, s34
	s_add_u32 s0, s0, s42
	s_addc_u32 s35, 0, s41
	s_add_u32 s0, s0, s40
	s_mul_hi_u32 s1, s29, s34
	s_addc_u32 s0, s35, s39
	s_addc_u32 s1, s1, 0
	s_mul_i32 s34, s29, s34
	s_add_u32 s0, s0, s34
	s_addc_u32 s1, 0, s1
	v_add_co_u32_e32 v3, vcc, s0, v3
	s_cmp_lg_u64 vcc, 0
	s_addc_u32 s0, s29, s1
	v_readfirstlane_b32 s34, v3
	s_mul_i32 s29, s22, s0
	s_mul_hi_u32 s35, s22, s34
	s_mul_hi_u32 s1, s22, s0
	s_add_u32 s29, s35, s29
	s_addc_u32 s1, 0, s1
	s_mul_hi_u32 s39, s23, s34
	s_mul_i32 s34, s23, s34
	s_add_u32 s29, s29, s34
	s_mul_hi_u32 s35, s23, s0
	s_addc_u32 s1, s1, s39
	s_addc_u32 s29, s35, 0
	s_mul_i32 s0, s23, s0
	s_add_u32 s34, s1, s0
	s_addc_u32 s29, 0, s29
	s_mul_i32 s0, s30, s29
	s_mul_hi_u32 s1, s30, s34
	s_add_i32 s0, s1, s0
	s_mul_i32 s1, s31, s34
	s_add_i32 s35, s0, s1
	s_mul_i32 s1, s30, s34
	v_mov_b32_e32 v3, s1
	s_sub_i32 s0, s23, s35
	v_sub_co_u32_e32 v3, vcc, s22, v3
	s_cmp_lg_u64 vcc, 0
	s_subb_u32 s39, s0, s31
	v_subrev_co_u32_e64 v4, s[0:1], s30, v3
	s_cmp_lg_u64 s[0:1], 0
	s_subb_u32 s0, s39, 0
	s_cmp_ge_u32 s0, s31
	v_readfirstlane_b32 s39, v4
	s_cselect_b32 s1, -1, 0
	s_cmp_ge_u32 s39, s30
	s_cselect_b32 s39, -1, 0
	s_cmp_eq_u32 s0, s31
	s_cselect_b32 s0, s39, s1
	s_add_u32 s1, s34, 1
	s_addc_u32 s39, s29, 0
	s_add_u32 s40, s34, 2
	s_addc_u32 s41, s29, 0
	s_cmp_lg_u32 s0, 0
	s_cselect_b32 s0, s40, s1
	s_cselect_b32 s1, s41, s39
	s_cmp_lg_u64 vcc, 0
	s_subb_u32 s35, s23, s35
	s_cmp_ge_u32 s35, s31
	v_readfirstlane_b32 s40, v3
	s_cselect_b32 s39, -1, 0
	s_cmp_ge_u32 s40, s30
	s_cselect_b32 s40, -1, 0
	s_cmp_eq_u32 s35, s31
	s_cselect_b32 s35, s40, s39
	s_cmp_lg_u32 s35, 0
	s_cselect_b32 s1, s1, s29
	s_cselect_b32 s0, s0, s34
	s_cbranch_execnz .LBB0_10
.LBB0_9:                                ;   in Loop: Header=BB0_7 Depth=1
	v_cvt_f32_u32_e32 v3, s30
	s_sub_i32 s0, 0, s30
	v_rcp_iflag_f32_e32 v3, v3
	v_mul_f32_e32 v3, 0x4f7ffffe, v3
	v_cvt_u32_f32_e32 v3, v3
	v_readfirstlane_b32 s1, v3
	s_mul_i32 s0, s0, s1
	s_mul_hi_u32 s0, s1, s0
	s_add_i32 s1, s1, s0
	s_mul_hi_u32 s0, s22, s1
	s_mul_i32 s29, s0, s30
	s_sub_i32 s29, s22, s29
	s_add_i32 s1, s0, 1
	s_sub_i32 s34, s29, s30
	s_cmp_ge_u32 s29, s30
	s_cselect_b32 s0, s1, s0
	s_cselect_b32 s29, s34, s29
	s_add_i32 s1, s0, 1
	s_cmp_ge_u32 s29, s30
	s_cselect_b32 s0, s1, s0
	s_mov_b32 s1, s28
.LBB0_10:                               ;   in Loop: Header=BB0_7 Depth=1
	s_mul_i32 s5, s30, s5
	s_mul_hi_u32 s29, s30, s4
	s_add_i32 s5, s29, s5
	s_mul_i32 s29, s31, s4
	s_add_i32 s5, s5, s29
	s_mul_i32 s29, s0, s31
	s_mul_hi_u32 s31, s0, s30
	s_load_dwordx2 s[34:35], s[24:25], 0x0
	s_add_i32 s29, s31, s29
	s_mul_i32 s31, s1, s30
	s_mul_i32 s4, s30, s4
	s_add_i32 s29, s29, s31
	s_mul_i32 s30, s0, s30
	s_sub_u32 s22, s22, s30
	s_subb_u32 s23, s23, s29
	s_waitcnt lgkmcnt(0)
	s_mul_i32 s23, s34, s23
	s_mul_hi_u32 s29, s34, s22
	s_add_i32 s23, s29, s23
	s_mul_i32 s29, s35, s22
	s_add_i32 s23, s23, s29
	s_mul_i32 s22, s34, s22
	s_add_u32 s38, s22, s38
	s_addc_u32 s37, s23, s37
	s_add_u32 s26, s26, 1
	s_addc_u32 s27, s27, 0
	;; [unrolled: 2-line block ×3, first 2 shown]
	v_cmp_ge_u64_e32 vcc, s[26:27], v[1:2]
	s_add_u32 s12, s12, 8
	s_addc_u32 s13, s13, 0
	s_cbranch_vccnz .LBB0_13
; %bb.11:                               ;   in Loop: Header=BB0_7 Depth=1
	s_mov_b64 s[22:23], s[0:1]
	s_branch .LBB0_7
.LBB0_12:                               ;   in Loop: Header=BB0_7 Depth=1
                                        ; implicit-def: $sgpr0_sgpr1
	s_branch .LBB0_9
.LBB0_13:
	v_mov_b32_e32 v1, s4
	v_mov_b32_e32 v2, s5
	v_cmp_lt_u64_e32 vcc, s[6:7], v[1:2]
	s_mov_b64 s[22:23], 0
	s_cbranch_vccnz .LBB0_15
; %bb.14:
	v_cvt_f32_u32_e32 v1, s4
	s_sub_i32 s0, 0, s4
	v_rcp_iflag_f32_e32 v1, v1
	v_mul_f32_e32 v1, 0x4f7ffffe, v1
	v_cvt_u32_f32_e32 v1, v1
	v_readfirstlane_b32 s1, v1
	s_mul_i32 s0, s0, s1
	s_mul_hi_u32 s0, s1, s0
	s_add_i32 s1, s1, s0
	s_mul_hi_u32 s0, s6, s1
	s_mul_i32 s5, s0, s4
	s_sub_i32 s5, s6, s5
	s_add_i32 s1, s0, 1
	s_sub_i32 s6, s5, s4
	s_cmp_ge_u32 s5, s4
	s_cselect_b32 s0, s1, s0
	s_cselect_b32 s5, s6, s5
	s_add_i32 s1, s0, 1
	s_cmp_ge_u32 s5, s4
	s_cselect_b32 s22, s1, s0
.LBB0_15:
	s_lshl_b64 s[0:1], s[10:11], 3
	s_add_u32 s0, s14, s0
	s_addc_u32 s1, s15, s1
	s_load_dwordx2 s[0:1], s[0:1], 0x0
	s_mov_b32 s4, 0x15555556
	v_mul_hi_u32 v26, v0, s4
	v_mov_b32_e32 v1, s8
	v_mov_b32_e32 v2, s9
	s_waitcnt lgkmcnt(0)
	s_mul_i32 s1, s1, s22
	s_mul_hi_u32 s4, s0, s22
	s_mul_i32 s0, s0, s22
	s_add_i32 s1, s4, s1
	s_add_u32 s4, s0, s38
	s_addc_u32 s5, s1, s37
	s_add_u32 s0, s36, 12
	s_addc_u32 s1, s33, 0
	v_cmp_le_u64_e32 vcc, s[0:1], v[1:2]
	v_mul_u32_u24_e32 v1, 12, v26
	v_sub_u32_e32 v31, v0, v1
	v_mov_b32_e32 v2, s33
	v_add_co_u32_e64 v1, s[0:1], s36, v31
	v_addc_co_u32_e64 v2, s[0:1], 0, v2, s[0:1]
	v_cmp_gt_u64_e64 s[0:1], s[8:9], v[1:2]
	v_mov_b32_e32 v8, 0
	s_or_b64 s[0:1], vcc, s[0:1]
	v_lshlrev_b32_e32 v32, 3, v26
	v_add_u32_e32 v30, 13, v26
	v_add_u32_e32 v29, 26, v26
	;; [unrolled: 1-line block ×4, first 2 shown]
	s_and_saveexec_b64 s[6:7], s[0:1]
	s_cbranch_execz .LBB0_17
; %bb.16:
	v_mad_u64_u32 v[1:2], s[8:9], s18, v31, 0
	v_mad_u64_u32 v[3:4], s[8:9], s16, v26, 0
	v_add_u32_e32 v21, 0x68, v26
	v_mad_u64_u32 v[5:6], s[8:9], s19, v31, v[2:3]
	v_mov_b32_e32 v2, v4
	v_mad_u64_u32 v[6:7], s[8:9], s17, v26, v[2:3]
	s_lshl_b64 s[8:9], s[4:5], 3
	s_add_u32 s10, s2, s8
	s_addc_u32 s8, s3, s9
	v_mov_b32_e32 v2, v5
	v_mov_b32_e32 v4, v6
	;; [unrolled: 1-line block ×3, first 2 shown]
	v_mad_u64_u32 v[5:6], s[8:9], s16, v30, 0
	v_lshlrev_b64 v[1:2], 3, v[1:2]
	v_mad_u64_u32 v[9:10], s[8:9], s16, v29, 0
	v_add_co_u32_e32 v39, vcc, s10, v1
	v_addc_co_u32_e32 v40, vcc, v7, v2, vcc
	v_lshlrev_b64 v[1:2], 3, v[3:4]
	v_mov_b32_e32 v3, v6
	v_mad_u64_u32 v[3:4], s[8:9], s17, v30, v[3:4]
	v_add_co_u32_e32 v1, vcc, v39, v1
	v_mov_b32_e32 v6, v3
	v_lshlrev_b64 v[3:4], 3, v[5:6]
	v_mov_b32_e32 v5, v10
	v_mad_u64_u32 v[5:6], s[8:9], s17, v29, v[5:6]
	v_mad_u64_u32 v[6:7], s[8:9], s16, v28, 0
	v_mov_b32_e32 v10, v5
	v_addc_co_u32_e32 v2, vcc, v40, v2, vcc
	v_mov_b32_e32 v5, v7
	v_mad_u64_u32 v[11:12], s[8:9], s17, v28, v[5:6]
	v_add_co_u32_e32 v3, vcc, v39, v3
	v_lshlrev_b64 v[9:10], 3, v[9:10]
	v_addc_co_u32_e32 v4, vcc, v40, v4, vcc
	v_mov_b32_e32 v7, v11
	v_mad_u64_u32 v[11:12], s[8:9], s16, v27, 0
	v_add_co_u32_e32 v9, vcc, v39, v9
	v_lshlrev_b64 v[5:6], 3, v[6:7]
	v_addc_co_u32_e32 v10, vcc, v40, v10, vcc
	v_add_co_u32_e32 v5, vcc, v39, v5
	v_addc_co_u32_e32 v6, vcc, v40, v6, vcc
	global_load_dwordx2 v[13:14], v[1:2], off
	global_load_dwordx2 v[15:16], v[3:4], off
	global_load_dwordx2 v[17:18], v[9:10], off
	global_load_dwordx2 v[19:20], v[5:6], off
	v_mov_b32_e32 v1, v12
	v_add_u32_e32 v6, 0x41, v26
	v_mad_u64_u32 v[1:2], s[8:9], s17, v27, v[1:2]
	v_add_u32_e32 v9, 0x4e, v26
	v_mad_u64_u32 v[2:3], s[8:9], s16, v6, 0
	v_mad_u64_u32 v[4:5], s[8:9], s16, v9, 0
	v_mov_b32_e32 v12, v1
	v_mov_b32_e32 v1, v3
	v_mad_u64_u32 v[6:7], s[8:9], s17, v6, v[1:2]
	v_mov_b32_e32 v1, v5
	v_mad_u64_u32 v[9:10], s[8:9], s17, v9, v[1:2]
	v_lshlrev_b64 v[10:11], 3, v[11:12]
	v_mov_b32_e32 v3, v6
	v_add_co_u32_e32 v6, vcc, v39, v10
	v_add_u32_e32 v12, 0x5b, v26
	v_addc_co_u32_e32 v7, vcc, v40, v11, vcc
	v_mad_u64_u32 v[10:11], s[8:9], s16, v12, 0
	v_mov_b32_e32 v5, v9
	v_lshlrev_b64 v[1:2], 3, v[2:3]
	v_lshlrev_b64 v[3:4], 3, v[4:5]
	v_mov_b32_e32 v5, v11
	v_mad_u64_u32 v[11:12], s[8:9], s17, v12, v[5:6]
	v_add_co_u32_e32 v1, vcc, v39, v1
	v_lshlrev_b64 v[9:10], 3, v[10:11]
	v_mad_u64_u32 v[11:12], s[8:9], s16, v21, 0
	v_addc_co_u32_e32 v2, vcc, v40, v2, vcc
	v_mov_b32_e32 v5, v12
	v_mad_u64_u32 v[21:22], s[8:9], s17, v21, v[5:6]
	v_add_u32_e32 v5, 0x75, v26
	v_mad_u64_u32 v[22:23], s[8:9], s16, v5, 0
	v_add_co_u32_e32 v3, vcc, v39, v3
	v_addc_co_u32_e32 v4, vcc, v40, v4, vcc
	v_add_co_u32_e32 v9, vcc, v39, v9
	v_addc_co_u32_e32 v10, vcc, v40, v10, vcc
	global_load_dwordx2 v[24:25], v[6:7], off
	global_load_dwordx2 v[33:34], v[1:2], off
	;; [unrolled: 1-line block ×4, first 2 shown]
	v_mov_b32_e32 v3, v23
	v_mad_u64_u32 v[3:4], s[8:9], s17, v5, v[3:4]
	v_add_u32_e32 v9, 0x82, v26
	v_mad_u64_u32 v[4:5], s[8:9], s16, v9, 0
	v_mov_b32_e32 v12, v21
	v_mov_b32_e32 v23, v3
	;; [unrolled: 1-line block ×3, first 2 shown]
	v_lshlrev_b64 v[1:2], 3, v[11:12]
	v_mad_u64_u32 v[9:10], s[8:9], s17, v9, v[3:4]
	v_add_u32_e32 v12, 0x8f, v26
	v_mad_u64_u32 v[10:11], s[8:9], s16, v12, 0
	v_add_co_u32_e32 v1, vcc, v39, v1
	v_lshlrev_b64 v[6:7], 3, v[22:23]
	v_addc_co_u32_e32 v2, vcc, v40, v2, vcc
	v_mov_b32_e32 v5, v9
	v_add_co_u32_e32 v6, vcc, v39, v6
	v_lshlrev_b64 v[3:4], 3, v[4:5]
	v_mov_b32_e32 v5, v11
	v_mad_u64_u32 v[11:12], s[8:9], s17, v12, v[5:6]
	v_add_u32_e32 v12, 0x9c, v26
	v_mad_u64_u32 v[21:22], s[8:9], s16, v12, 0
	v_lshlrev_b64 v[9:10], 3, v[10:11]
	v_addc_co_u32_e32 v7, vcc, v40, v7, vcc
	v_mov_b32_e32 v5, v22
	v_mad_u64_u32 v[11:12], s[8:9], s17, v12, v[5:6]
	v_add_co_u32_e32 v3, vcc, v39, v3
	v_addc_co_u32_e32 v4, vcc, v40, v4, vcc
	v_mov_b32_e32 v22, v11
	v_add_co_u32_e32 v9, vcc, v39, v9
	v_lshlrev_b64 v[11:12], 3, v[21:22]
	v_addc_co_u32_e32 v10, vcc, v40, v10, vcc
	v_add_co_u32_e32 v11, vcc, v39, v11
	v_addc_co_u32_e32 v12, vcc, v40, v12, vcc
	global_load_dwordx2 v[21:22], v[1:2], off
	global_load_dwordx2 v[39:40], v[6:7], off
	;; [unrolled: 1-line block ×5, first 2 shown]
	s_movk_i32 s8, 0x548
	v_mul_lo_u32 v1, v31, s8
	v_add3_u32 v1, 0, v1, v32
	s_waitcnt vmcnt(11)
	ds_write2_b64 v1, v[13:14], v[15:16] offset1:13
	s_waitcnt vmcnt(9)
	ds_write2_b64 v1, v[17:18], v[19:20] offset0:26 offset1:39
	s_waitcnt vmcnt(7)
	ds_write2_b64 v1, v[24:25], v[33:34] offset0:52 offset1:65
	;; [unrolled: 2-line block ×5, first 2 shown]
	s_waitcnt vmcnt(0)
	ds_write_b64 v1, v[45:46] offset:1248
.LBB0_17:
	s_or_b64 exec, exec, s[6:7]
	s_mov_b32 s6, 0x13b13b14
	v_mul_hi_u32 v5, v0, s6
	s_add_u32 s6, 0, 0x55540000
	s_addc_u32 s7, 0, 0x55
	s_add_i32 s7, s7, 0x15555500
	s_mul_hi_u32 s11, s6, -12
	s_sub_i32 s11, s11, s6
	s_mul_i32 s12, s7, -12
	s_mul_i32 s8, s6, -12
	s_add_i32 s11, s11, s12
	s_mul_hi_u32 s9, s7, s8
	s_mul_i32 s10, s7, s8
	s_mul_i32 s13, s6, s11
	s_mul_hi_u32 s8, s6, s8
	s_mul_hi_u32 s12, s6, s11
	s_add_u32 s8, s8, s13
	s_addc_u32 s12, 0, s12
	s_add_u32 s8, s8, s10
	s_mul_hi_u32 s13, s7, s11
	s_addc_u32 s8, s12, s9
	s_addc_u32 s9, s13, 0
	s_mul_i32 s10, s7, s11
	v_mov_b32_e32 v1, s33
	v_add_co_u32_e32 v11, vcc, s36, v5
	s_add_u32 s8, s8, s10
	v_addc_co_u32_e32 v6, vcc, 0, v1, vcc
	v_mov_b32_e32 v1, s8
	s_addc_u32 s9, 0, s9
	v_add_co_u32_e32 v3, vcc, s6, v1
	s_cmp_lg_u64 vcc, 0
	s_addc_u32 s8, s7, s9
	v_mad_u64_u32 v[1:2], s[6:7], v11, s8, 0
	v_mul_hi_u32 v4, v11, v3
	s_waitcnt lgkmcnt(0)
	s_barrier
	v_add_co_u32_e32 v7, vcc, v4, v1
	v_addc_co_u32_e32 v9, vcc, 0, v2, vcc
	v_mad_u64_u32 v[1:2], s[6:7], v6, v3, 0
	v_mad_u64_u32 v[3:4], s[6:7], v6, s8, 0
	v_add_co_u32_e32 v1, vcc, v7, v1
	v_addc_co_u32_e32 v1, vcc, v9, v2, vcc
	v_addc_co_u32_e32 v2, vcc, 0, v4, vcc
	v_add_co_u32_e32 v1, vcc, v1, v3
	v_addc_co_u32_e32 v3, vcc, 0, v2, vcc
	v_mad_u64_u32 v[1:2], s[6:7], v1, 12, 0
	s_mov_b32 s8, 0x3f62ad3f
	s_mov_b32 s9, 0xbeb58ec6
	v_mad_u64_u32 v[2:3], s[6:7], v3, 12, v[2:3]
	v_sub_co_u32_e32 v1, vcc, v11, v1
	v_subb_co_u32_e32 v2, vcc, v6, v2, vcc
	v_subrev_co_u32_e32 v3, vcc, 12, v1
	v_subbrev_co_u32_e32 v4, vcc, 0, v2, vcc
	v_cmp_lt_u32_e32 vcc, 11, v3
	v_cndmask_b32_e64 v6, 0, -1, vcc
	v_cmp_eq_u32_e32 vcc, 0, v4
	v_cndmask_b32_e32 v4, -1, v6, vcc
	v_add_u32_e32 v6, -12, v3
	v_cmp_ne_u32_e32 vcc, 0, v4
	v_cndmask_b32_e32 v3, v3, v6, vcc
	v_cmp_lt_u32_e32 vcc, 11, v1
	v_cndmask_b32_e64 v4, 0, -1, vcc
	v_cmp_eq_u32_e32 vcc, 0, v2
	v_cndmask_b32_e32 v2, -1, v4, vcc
	v_cmp_ne_u32_e32 vcc, 0, v2
	v_cndmask_b32_e32 v1, v1, v3, vcc
	v_mul_u32_u24_e32 v1, 0xa9, v1
	v_mul_u32_u24_e32 v2, 13, v5
	v_sub_u32_e32 v12, v0, v2
	v_lshlrev_b32_e32 v0, 3, v1
	v_add_u32_e32 v14, 0, v0
	v_lshlrev_b32_e32 v1, 3, v12
	v_add_u32_e32 v13, v14, v1
	ds_read_b64 v[23:24], v13
	v_add3_u32 v33, 0, v1, v0
	ds_read2_b64 v[15:18], v33 offset0:13 offset1:26
	ds_read2_b64 v[19:22], v33 offset0:39 offset1:52
	ds_read2_b64 v[0:3], v33 offset0:65 offset1:78
	ds_read2_b64 v[4:7], v33 offset0:91 offset1:104
	ds_read2_b64 v[34:37], v33 offset0:117 offset1:130
	ds_read2_b64 v[38:41], v33 offset0:143 offset1:156
	s_mov_b32 s7, 0x3f116cb1
	s_mov_b32 s6, 0x3df6dbef
	s_waitcnt lgkmcnt(5)
	v_add_f32_e32 v9, v23, v15
	v_add_f32_e32 v10, v24, v16
	v_add_f32_e32 v9, v9, v17
	v_add_f32_e32 v10, v10, v18
	s_waitcnt lgkmcnt(4)
	v_add_f32_e32 v9, v9, v19
	v_add_f32_e32 v10, v10, v20
	v_add_f32_e32 v9, v9, v21
	v_add_f32_e32 v10, v10, v22
	;; [unrolled: 5-line block ×5, first 2 shown]
	s_waitcnt lgkmcnt(0)
	v_add_f32_e32 v9, v9, v38
	v_add_f32_e32 v25, v40, v15
	v_add_f32_e32 v42, v41, v16
	v_sub_f32_e32 v15, v15, v40
	v_sub_f32_e32 v16, v16, v41
	v_add_f32_e32 v10, v10, v39
	v_add_f32_e32 v9, v9, v40
	v_mul_f32_e32 v40, 0xbeedf032, v16
	v_mul_f32_e32 v43, 0xbeedf032, v15
	;; [unrolled: 1-line block ×9, first 2 shown]
	s_mov_b32 s10, 0xbf3f9e67
	v_mul_f32_e32 v59, 0xbf29c268, v15
	v_mul_f32_e32 v16, 0xbe750f2a, v16
	s_mov_b32 s11, 0xbf788fa5
	v_mul_f32_e32 v15, 0xbe750f2a, v15
	v_add_f32_e32 v10, v10, v41
	v_fma_f32 v41, v25, s8, -v40
	v_mov_b32_e32 v44, v43
	v_fmac_f32_e32 v40, 0x3f62ad3f, v25
	v_fma_f32 v46, v25, s7, -v45
	v_mov_b32_e32 v48, v47
	v_fmac_f32_e32 v45, 0x3f116cb1, v25
	;; [unrolled: 3-line block ×5, first 2 shown]
	v_fma_f32 v61, v25, s11, -v16
	v_fmac_f32_e32 v16, 0xbf788fa5, v25
	v_mov_b32_e32 v25, v15
	v_fmac_f32_e32 v44, 0x3f62ad3f, v42
	v_fma_f32 v43, v42, s8, -v43
	v_fmac_f32_e32 v48, 0x3f116cb1, v42
	v_fma_f32 v47, v42, s7, -v47
	;; [unrolled: 2-line block ×6, first 2 shown]
	v_add_f32_e32 v44, v24, v44
	v_add_f32_e32 v43, v24, v43
	;; [unrolled: 1-line block ×13, first 2 shown]
	v_sub_f32_e32 v18, v18, v39
	v_add_f32_e32 v41, v23, v41
	v_add_f32_e32 v40, v23, v40
	;; [unrolled: 1-line block ×13, first 2 shown]
	v_sub_f32_e32 v17, v17, v38
	v_mul_f32_e32 v38, 0xbf52af12, v18
	v_fma_f32 v39, v23, s7, -v38
	v_add_f32_e32 v39, v39, v41
	v_mul_f32_e32 v41, 0xbf52af12, v17
	v_mov_b32_e32 v42, v41
	v_fmac_f32_e32 v38, 0x3f116cb1, v23
	v_fmac_f32_e32 v42, 0x3f116cb1, v24
	v_add_f32_e32 v38, v38, v40
	v_fma_f32 v40, v24, s7, -v41
	v_mul_f32_e32 v41, 0xbf6f5d39, v18
	v_add_f32_e32 v42, v42, v44
	v_add_f32_e32 v40, v40, v43
	v_fma_f32 v43, v23, s9, -v41
	v_mul_f32_e32 v44, 0xbf6f5d39, v17
	v_add_f32_e32 v43, v43, v46
	v_mov_b32_e32 v46, v44
	v_fmac_f32_e32 v41, 0xbeb58ec6, v23
	v_fmac_f32_e32 v46, 0xbeb58ec6, v24
	v_add_f32_e32 v41, v41, v45
	v_fma_f32 v44, v24, s9, -v44
	v_mul_f32_e32 v45, 0xbe750f2a, v18
	v_add_f32_e32 v46, v46, v48
	v_add_f32_e32 v44, v44, v47
	v_fma_f32 v47, v23, s11, -v45
	v_mul_f32_e32 v48, 0xbe750f2a, v17
	v_add_f32_e32 v47, v47, v50
	;; [unrolled: 11-line block ×4, first 2 shown]
	v_mov_b32_e32 v58, v56
	v_fmac_f32_e32 v53, 0x3df6dbef, v23
	v_fma_f32 v56, v24, s6, -v56
	v_mul_f32_e32 v18, 0x3eedf032, v18
	v_mul_f32_e32 v17, 0x3eedf032, v17
	v_add_f32_e32 v53, v53, v57
	v_add_f32_e32 v56, v56, v59
	v_fma_f32 v57, v23, s8, -v18
	v_mov_b32_e32 v59, v17
	v_fmac_f32_e32 v18, 0x3f62ad3f, v23
	v_fma_f32 v17, v24, s8, -v17
	v_add_f32_e32 v16, v18, v16
	v_add_f32_e32 v15, v17, v15
	v_add_f32_e32 v17, v36, v19
	v_add_f32_e32 v18, v37, v20
	v_sub_f32_e32 v19, v19, v36
	v_sub_f32_e32 v20, v20, v37
	v_mul_f32_e32 v23, 0xbf7e222b, v20
	v_mul_f32_e32 v36, 0xbf7e222b, v19
	v_fmac_f32_e32 v58, 0x3df6dbef, v24
	v_fmac_f32_e32 v59, 0x3f62ad3f, v24
	v_fma_f32 v24, v17, s6, -v23
	v_mov_b32_e32 v37, v36
	v_fmac_f32_e32 v23, 0x3df6dbef, v17
	v_fma_f32 v36, v18, s6, -v36
	v_fmac_f32_e32 v37, 0x3df6dbef, v18
	v_add_f32_e32 v23, v23, v38
	v_add_f32_e32 v36, v36, v40
	v_mul_f32_e32 v38, 0xbe750f2a, v20
	v_mul_f32_e32 v40, 0xbe750f2a, v19
	v_add_f32_e32 v24, v24, v39
	v_add_f32_e32 v37, v37, v42
	v_fma_f32 v39, v17, s11, -v38
	v_mov_b32_e32 v42, v40
	v_fmac_f32_e32 v38, 0xbf788fa5, v17
	v_fma_f32 v40, v18, s11, -v40
	v_fmac_f32_e32 v42, 0xbf788fa5, v18
	v_add_f32_e32 v38, v38, v41
	v_add_f32_e32 v40, v40, v44
	v_mul_f32_e32 v41, 0x3f6f5d39, v20
	v_mul_f32_e32 v44, 0x3f6f5d39, v19
	v_add_f32_e32 v39, v39, v43
	v_add_f32_e32 v42, v42, v46
	;; [unrolled: 11-line block ×4, first 2 shown]
	v_fma_f32 v51, v17, s7, -v49
	v_mov_b32_e32 v54, v52
	v_fmac_f32_e32 v49, 0x3f116cb1, v17
	v_mul_f32_e32 v20, 0xbf29c268, v20
	v_mul_f32_e32 v19, 0xbf29c268, v19
	v_add_f32_e32 v58, v58, v60
	v_add_f32_e32 v57, v57, v61
	v_add_f32_e32 v51, v51, v55
	v_fmac_f32_e32 v54, 0x3f116cb1, v18
	v_add_f32_e32 v49, v49, v53
	v_fma_f32 v52, v18, s7, -v52
	v_fma_f32 v53, v17, s10, -v20
	v_mov_b32_e32 v55, v19
	v_fmac_f32_e32 v20, 0xbf3f9e67, v17
	v_sub_f32_e32 v60, v21, v34
	v_sub_f32_e32 v61, v22, v35
	v_add_f32_e32 v54, v54, v58
	v_add_f32_e32 v52, v52, v56
	v_fmac_f32_e32 v55, 0xbf3f9e67, v18
	v_add_f32_e32 v56, v20, v16
	v_fma_f32 v16, v18, s10, -v19
	v_add_f32_e32 v58, v34, v21
	v_mul_f32_e32 v18, 0xbf6f5d39, v60
	v_mul_f32_e32 v21, 0x3f29c268, v61
	v_add_f32_e32 v25, v59, v25
	v_add_f32_e32 v53, v53, v57
	;; [unrolled: 1-line block ×4, first 2 shown]
	v_mov_b32_e32 v16, v18
	v_fma_f32 v19, v58, s10, -v21
	v_fmac_f32_e32 v21, 0xbf3f9e67, v58
	v_mul_f32_e32 v17, 0xbf6f5d39, v61
	v_fmac_f32_e32 v16, 0xbeb58ec6, v59
	v_fma_f32 v18, v59, s9, -v18
	v_add_f32_e32 v21, v21, v38
	v_mul_f32_e32 v38, 0xbf7e222b, v60
	v_add_f32_e32 v55, v55, v25
	v_fma_f32 v15, v58, s9, -v17
	v_add_f32_e32 v16, v16, v37
	v_fmac_f32_e32 v17, 0xbeb58ec6, v58
	v_add_f32_e32 v18, v18, v36
	v_mul_f32_e32 v25, 0x3eedf032, v61
	v_mul_f32_e32 v37, 0xbf7e222b, v61
	v_mov_b32_e32 v36, v38
	v_fma_f32 v38, v59, s6, -v38
	v_add_f32_e32 v17, v17, v23
	v_mul_f32_e32 v22, 0x3f29c268, v60
	v_fma_f32 v23, v58, s8, -v25
	v_fmac_f32_e32 v25, 0x3f62ad3f, v58
	v_fma_f32 v35, v58, s6, -v37
	v_add_f32_e32 v38, v38, v48
	v_add_f32_e32 v48, v7, v1
	v_sub_f32_e32 v1, v1, v7
	v_mov_b32_e32 v20, v22
	v_add_f32_e32 v25, v25, v41
	v_add_f32_e32 v35, v35, v47
	v_mul_f32_e32 v41, 0x3e750f2a, v61
	v_add_f32_e32 v47, v6, v0
	v_sub_f32_e32 v0, v0, v6
	v_mul_f32_e32 v6, 0xbf29c268, v1
	v_add_f32_e32 v15, v15, v24
	v_add_f32_e32 v19, v19, v39
	v_fmac_f32_e32 v20, 0xbf3f9e67, v59
	v_mul_f32_e32 v34, 0x3eedf032, v60
	v_fma_f32 v39, v58, s11, -v41
	v_fmac_f32_e32 v41, 0xbf788fa5, v58
	v_fma_f32 v7, v47, s10, -v6
	v_add_f32_e32 v20, v20, v42
	v_fma_f32 v22, v59, s10, -v22
	v_mov_b32_e32 v24, v34
	v_mul_f32_e32 v42, 0x3e750f2a, v60
	v_add_f32_e32 v41, v41, v49
	v_add_f32_e32 v49, v7, v15
	v_mul_f32_e32 v7, 0xbf29c268, v0
	v_fmac_f32_e32 v6, 0xbf3f9e67, v47
	v_add_f32_e32 v22, v22, v40
	v_fmac_f32_e32 v24, 0x3f62ad3f, v59
	v_fmac_f32_e32 v37, 0x3df6dbef, v58
	v_add_f32_e32 v39, v39, v51
	v_mov_b32_e32 v40, v42
	v_fma_f32 v42, v59, s11, -v42
	v_add_f32_e32 v51, v6, v17
	v_fma_f32 v6, v48, s10, -v7
	v_add_f32_e32 v24, v24, v46
	;; [unrolled: 2-line block ×3, first 2 shown]
	v_add_f32_e32 v42, v42, v52
	v_mul_f32_e32 v45, 0x3f52af12, v61
	v_mul_f32_e32 v46, 0x3f52af12, v60
	v_add_f32_e32 v52, v6, v18
	v_mul_f32_e32 v6, 0x3f7e222b, v1
	v_add_f32_e32 v23, v23, v43
	v_add_f32_e32 v34, v34, v44
	v_fma_f32 v43, v58, s7, -v45
	v_mov_b32_e32 v44, v46
	v_mov_b32_e32 v15, v7
	v_fma_f32 v7, v47, s6, -v6
	v_add_f32_e32 v43, v43, v53
	v_fmac_f32_e32 v44, 0x3f116cb1, v59
	v_add_f32_e32 v53, v7, v19
	v_mul_f32_e32 v7, 0x3f7e222b, v0
	v_fmac_f32_e32 v6, 0x3df6dbef, v47
	v_add_f32_e32 v44, v44, v55
	v_fmac_f32_e32 v45, 0x3f116cb1, v58
	v_add_f32_e32 v55, v6, v21
	v_fma_f32 v6, v48, s6, -v7
	v_fmac_f32_e32 v36, 0x3df6dbef, v59
	v_add_f32_e32 v45, v45, v56
	v_fmac_f32_e32 v15, 0xbf3f9e67, v48
	v_add_f32_e32 v56, v6, v22
	v_mul_f32_e32 v6, 0xbf52af12, v1
	v_add_f32_e32 v36, v36, v50
	v_fma_f32 v46, v59, s7, -v46
	v_add_f32_e32 v50, v15, v16
	v_mov_b32_e32 v15, v7
	v_fma_f32 v7, v47, s7, -v6
	v_add_f32_e32 v46, v46, v57
	v_add_f32_e32 v57, v7, v23
	v_mul_f32_e32 v7, 0xbf52af12, v0
	v_fmac_f32_e32 v6, 0x3f116cb1, v47
	v_add_f32_e32 v25, v6, v25
	v_fma_f32 v6, v48, s7, -v7
	v_fmac_f32_e32 v40, 0xbf788fa5, v59
	v_fmac_f32_e32 v15, 0x3df6dbef, v48
	v_add_f32_e32 v34, v6, v34
	v_mul_f32_e32 v6, 0x3e750f2a, v1
	v_add_f32_e32 v40, v40, v54
	v_add_f32_e32 v54, v15, v20
	v_mov_b32_e32 v15, v7
	v_fma_f32 v7, v47, s11, -v6
	v_fmac_f32_e32 v15, 0x3f116cb1, v48
	v_add_f32_e32 v23, v7, v35
	v_mul_f32_e32 v7, 0x3e750f2a, v0
	v_add_f32_e32 v58, v15, v24
	v_mov_b32_e32 v15, v7
	v_fmac_f32_e32 v15, 0xbf788fa5, v48
	v_add_f32_e32 v24, v15, v36
	v_mul_f32_e32 v15, 0x3eedf032, v1
	v_fma_f32 v16, v47, s8, -v15
	v_add_f32_e32 v21, v16, v39
	v_mul_f32_e32 v16, 0x3eedf032, v0
	v_fmac_f32_e32 v15, 0x3f62ad3f, v47
	v_mov_b32_e32 v17, v16
	v_add_f32_e32 v19, v15, v41
	v_fma_f32 v15, v48, s8, -v16
	v_mul_f32_e32 v1, 0xbf6f5d39, v1
	v_fmac_f32_e32 v17, 0x3f62ad3f, v48
	v_add_f32_e32 v20, v15, v42
	v_fma_f32 v15, v47, s9, -v1
	v_mul_f32_e32 v0, 0xbf6f5d39, v0
	v_add_f32_e32 v22, v17, v40
	v_add_f32_e32 v17, v15, v43
	v_mov_b32_e32 v15, v0
	v_fmac_f32_e32 v15, 0xbeb58ec6, v48
	v_add_f32_e32 v18, v15, v44
	v_fma_f32 v0, v48, s9, -v0
	v_sub_f32_e32 v44, v3, v5
	v_fmac_f32_e32 v1, 0xbeb58ec6, v47
	v_add_f32_e32 v16, v0, v46
	v_add_f32_e32 v41, v4, v2
	v_mul_f32_e32 v0, 0xbe750f2a, v44
	v_add_f32_e32 v15, v1, v45
	v_sub_f32_e32 v43, v2, v4
	v_fma_f32 v1, v41, s11, -v0
	v_add_f32_e32 v35, v1, v49
	v_mul_f32_e32 v1, 0xbe750f2a, v43
	v_add_f32_e32 v42, v5, v3
	v_mov_b32_e32 v2, v1
	v_fmac_f32_e32 v2, 0xbf788fa5, v42
	v_add_f32_e32 v36, v2, v50
	v_mul_f32_e32 v2, 0x3eedf032, v44
	v_fmac_f32_e32 v6, 0xbf788fa5, v47
	v_fma_f32 v3, v41, s8, -v2
	v_add_f32_e32 v6, v6, v37
	v_add_f32_e32 v37, v3, v53
	v_mul_f32_e32 v3, 0x3eedf032, v43
	v_mov_b32_e32 v4, v3
	v_fma_f32 v7, v48, s11, -v7
	v_fmac_f32_e32 v4, 0x3f62ad3f, v42
	v_add_f32_e32 v7, v7, v38
	v_add_f32_e32 v38, v4, v54
	v_mul_f32_e32 v4, 0xbf29c268, v44
	v_fma_f32 v5, v41, s10, -v4
	v_add_f32_e32 v39, v5, v57
	v_mul_f32_e32 v5, 0xbf29c268, v43
	v_fmac_f32_e32 v4, 0xbf3f9e67, v41
	v_mov_b32_e32 v40, v5
	v_add_f32_e32 v4, v4, v25
	v_fma_f32 v5, v42, s10, -v5
	v_mul_f32_e32 v25, 0x3f52af12, v44
	v_add_f32_e32 v5, v5, v34
	v_fma_f32 v34, v41, s7, -v25
	v_add_f32_e32 v23, v34, v23
	v_mul_f32_e32 v34, 0x3f52af12, v43
	v_fmac_f32_e32 v25, 0x3f116cb1, v41
	v_add_f32_e32 v6, v25, v6
	v_fma_f32 v25, v42, s7, -v34
	v_add_f32_e32 v7, v25, v7
	v_mul_f32_e32 v25, 0xbf6f5d39, v44
	v_mov_b32_e32 v45, v34
	v_fma_f32 v34, v41, s9, -v25
	v_add_f32_e32 v21, v34, v21
	v_mul_f32_e32 v34, 0xbf6f5d39, v43
	v_fmac_f32_e32 v25, 0xbeb58ec6, v41
	v_add_f32_e32 v19, v25, v19
	v_fma_f32 v25, v42, s9, -v34
	v_fmac_f32_e32 v45, 0x3f116cb1, v42
	v_add_f32_e32 v20, v25, v20
	v_mul_f32_e32 v25, 0x3f7e222b, v44
	v_add_f32_e32 v24, v45, v24
	v_mov_b32_e32 v45, v34
	v_fma_f32 v34, v41, s6, -v25
	v_add_f32_e32 v17, v34, v17
	v_mul_f32_e32 v34, 0x3f7e222b, v43
	v_mov_b32_e32 v43, v34
	v_fmac_f32_e32 v25, 0x3df6dbef, v41
	s_movk_i32 s12, 0x68
	v_fmac_f32_e32 v0, 0xbf788fa5, v41
	v_fma_f32 v1, v42, s11, -v1
	v_fmac_f32_e32 v2, 0x3f62ad3f, v41
	v_fma_f32 v3, v42, s8, -v3
	v_fmac_f32_e32 v40, 0xbf3f9e67, v42
	v_fmac_f32_e32 v45, 0xbeb58ec6, v42
	;; [unrolled: 1-line block ×3, first 2 shown]
	v_add_f32_e32 v15, v25, v15
	v_fma_f32 v25, v42, s6, -v34
	v_mad_i32_i24 v14, v12, s12, v14
	v_add_f32_e32 v0, v0, v51
	v_add_f32_e32 v1, v1, v52
	;; [unrolled: 1-line block ×8, first 2 shown]
	s_barrier
	ds_write2_b64 v14, v[9:10], v[35:36] offset1:1
	ds_write2_b64 v14, v[37:38], v[39:40] offset0:2 offset1:3
	ds_write2_b64 v14, v[23:24], v[21:22] offset0:4 offset1:5
	;; [unrolled: 1-line block ×5, first 2 shown]
	ds_write_b64 v14, v[0:1] offset:96
	v_mul_i32_i24_e32 v7, 12, v12
	v_lshlrev_b64 v[0:1], 3, v[7:8]
	v_mov_b32_e32 v2, s21
	v_add_co_u32_e32 v8, vcc, s20, v0
	v_addc_co_u32_e32 v9, vcc, v2, v1, vcc
	s_waitcnt lgkmcnt(0)
	s_barrier
	global_load_dwordx4 v[0:3], v[8:9], off
	global_load_dwordx4 v[4:7], v[8:9], off offset:16
	global_load_dwordx4 v[14:17], v[8:9], off offset:32
	;; [unrolled: 1-line block ×5, first 2 shown]
	ds_read2_b64 v[38:41], v33 offset0:13 offset1:26
	ds_read_b64 v[58:59], v13
	ds_read_b64 v[8:9], v33 offset:312
	ds_read2_b32 v[60:61], v33 offset0:104 offset1:105
	ds_read2_b64 v[42:45], v33 offset0:65 offset1:78
	ds_read2_b64 v[46:49], v33 offset0:91 offset1:104
	;; [unrolled: 1-line block ×4, first 2 shown]
	v_mul_lo_u32 v12, v12, v11
	s_waitcnt vmcnt(5) lgkmcnt(7)
	v_mul_f32_e32 v10, v1, v39
	v_mul_f32_e32 v13, v1, v38
	v_fma_f32 v10, v0, v38, -v10
	v_fmac_f32_e32 v13, v0, v39
	v_mul_f32_e32 v0, v3, v41
	v_fma_f32 v38, v2, v40, -v0
	s_waitcnt vmcnt(4) lgkmcnt(5)
	v_mul_f32_e32 v0, v5, v9
	v_mul_f32_e32 v39, v3, v40
	v_fma_f32 v40, v4, v8, -v0
	s_waitcnt lgkmcnt(4)
	v_mul_f32_e32 v0, v61, v7
	v_fma_f32 v62, v6, v60, -v0
	s_waitcnt vmcnt(3) lgkmcnt(3)
	v_mul_f32_e32 v0, v43, v15
	v_mul_f32_e32 v60, v7, v60
	v_fma_f32 v7, v42, v14, -v0
	v_mul_f32_e32 v0, v45, v17
	v_fmac_f32_e32 v39, v2, v41
	v_mul_f32_e32 v41, v5, v8
	v_fma_f32 v2, v44, v16, -v0
	s_waitcnt vmcnt(2) lgkmcnt(2)
	v_mul_f32_e32 v0, v47, v19
	v_fmac_f32_e32 v41, v4, v9
	v_fma_f32 v4, v46, v18, -v0
	v_mul_f32_e32 v0, v49, v21
	v_fmac_f32_e32 v60, v61, v6
	v_mul_f32_e32 v6, v42, v15
	v_fma_f32 v9, v48, v20, -v0
	s_waitcnt vmcnt(1) lgkmcnt(1)
	v_mul_f32_e32 v0, v51, v23
	v_fmac_f32_e32 v6, v43, v14
	v_mul_f32_e32 v3, v44, v17
	v_fma_f32 v14, v50, v22, -v0
	v_mul_f32_e32 v0, v53, v25
	v_fmac_f32_e32 v3, v45, v16
	v_mul_f32_e32 v5, v46, v19
	v_fma_f32 v16, v52, v24, -v0
	s_waitcnt vmcnt(0) lgkmcnt(0)
	v_mul_f32_e32 v0, v55, v35
	v_fmac_f32_e32 v5, v47, v18
	v_mul_f32_e32 v8, v48, v21
	v_fma_f32 v18, v54, v34, -v0
	v_mul_f32_e32 v0, v57, v37
	v_fmac_f32_e32 v8, v49, v20
	v_fma_f32 v20, v56, v36, -v0
	v_add_f32_e32 v0, v10, v58
	v_add_f32_e32 v1, v13, v59
	;; [unrolled: 1-line block ×13, first 2 shown]
	v_mul_f32_e32 v15, v50, v23
	v_add_f32_e32 v1, v1, v5
	v_add_f32_e32 v0, v0, v9
	v_fmac_f32_e32 v15, v51, v22
	v_mul_f32_e32 v17, v52, v25
	v_mul_f32_e32 v21, v56, v37
	v_add_f32_e32 v1, v1, v8
	v_add_f32_e32 v0, v0, v14
	;; [unrolled: 1-line block ×3, first 2 shown]
	v_sub_f32_e32 v10, v10, v20
	v_fmac_f32_e32 v17, v53, v24
	v_mul_f32_e32 v19, v54, v35
	v_fmac_f32_e32 v21, v57, v36
	v_add_f32_e32 v1, v1, v15
	v_add_f32_e32 v0, v0, v16
	v_mul_f32_e32 v24, 0xbeedf032, v10
	v_mul_f32_e32 v36, 0xbf52af12, v10
	;; [unrolled: 1-line block ×6, first 2 shown]
	v_fmac_f32_e32 v19, v55, v34
	v_add_f32_e32 v1, v1, v17
	v_add_f32_e32 v0, v0, v18
	;; [unrolled: 1-line block ×3, first 2 shown]
	v_sub_f32_e32 v13, v13, v21
	v_mov_b32_e32 v25, v24
	v_mov_b32_e32 v37, v36
	v_mov_b32_e32 v45, v44
	v_mov_b32_e32 v49, v48
	v_mov_b32_e32 v53, v52
	v_mov_b32_e32 v55, v10
	v_add_f32_e32 v1, v1, v19
	v_add_f32_e32 v0, v0, v20
	v_mul_f32_e32 v20, 0xbeedf032, v13
	v_fmac_f32_e32 v25, 0x3f62ad3f, v23
	v_fma_f32 v24, v23, s8, -v24
	v_mul_f32_e32 v34, 0xbf52af12, v13
	v_fmac_f32_e32 v37, 0x3f116cb1, v23
	v_fma_f32 v36, v23, s7, -v36
	;; [unrolled: 3-line block ×6, first 2 shown]
	v_add_f32_e32 v23, v39, v19
	v_sub_f32_e32 v19, v39, v19
	v_add_f32_e32 v1, v1, v21
	v_fma_f32 v21, v22, s8, -v20
	v_fmac_f32_e32 v20, 0x3f62ad3f, v22
	v_fma_f32 v35, v22, s7, -v34
	v_fmac_f32_e32 v34, 0x3f116cb1, v22
	;; [unrolled: 2-line block ×6, first 2 shown]
	v_add_f32_e32 v22, v38, v18
	v_sub_f32_e32 v18, v38, v18
	v_mul_f32_e32 v38, 0xbf52af12, v19
	v_add_f32_e32 v21, v21, v58
	v_fma_f32 v39, v22, s7, -v38
	v_add_f32_e32 v20, v20, v58
	v_add_f32_e32 v21, v39, v21
	v_mul_f32_e32 v39, 0xbf52af12, v18
	v_fmac_f32_e32 v38, 0x3f116cb1, v22
	v_add_f32_e32 v24, v24, v59
	v_add_f32_e32 v20, v38, v20
	v_fma_f32 v38, v23, s7, -v39
	v_add_f32_e32 v24, v38, v24
	v_mul_f32_e32 v38, 0xbf6f5d39, v19
	v_add_f32_e32 v35, v35, v58
	v_mov_b32_e32 v56, v39
	v_fma_f32 v39, v22, s9, -v38
	v_add_f32_e32 v34, v34, v58
	v_add_f32_e32 v35, v39, v35
	v_mul_f32_e32 v39, 0xbf6f5d39, v18
	v_fmac_f32_e32 v38, 0xbeb58ec6, v22
	v_add_f32_e32 v36, v36, v59
	v_add_f32_e32 v34, v38, v34
	v_fma_f32 v38, v23, s9, -v39
	v_add_f32_e32 v25, v25, v59
	v_fmac_f32_e32 v56, 0x3f116cb1, v23
	v_add_f32_e32 v36, v38, v36
	v_mul_f32_e32 v38, 0xbe750f2a, v19
	v_add_f32_e32 v43, v43, v58
	v_add_f32_e32 v25, v56, v25
	v_mov_b32_e32 v56, v39
	v_fma_f32 v39, v22, s11, -v38
	v_add_f32_e32 v37, v37, v59
	v_add_f32_e32 v42, v42, v58
	v_fmac_f32_e32 v56, 0xbeb58ec6, v23
	v_add_f32_e32 v39, v39, v43
	v_mul_f32_e32 v43, 0xbe750f2a, v18
	v_fmac_f32_e32 v38, 0xbf788fa5, v22
	v_add_f32_e32 v44, v44, v59
	v_add_f32_e32 v37, v56, v37
	v_mov_b32_e32 v56, v43
	v_add_f32_e32 v38, v38, v42
	v_fma_f32 v42, v23, s11, -v43
	v_mul_f32_e32 v43, 0x3f29c268, v19
	v_add_f32_e32 v47, v47, v58
	v_add_f32_e32 v42, v42, v44
	v_fma_f32 v44, v22, s10, -v43
	v_add_f32_e32 v45, v45, v59
	v_add_f32_e32 v46, v46, v58
	v_fmac_f32_e32 v56, 0xbf788fa5, v23
	v_add_f32_e32 v44, v44, v47
	v_mul_f32_e32 v47, 0x3f29c268, v18
	v_fmac_f32_e32 v43, 0xbf3f9e67, v22
	v_add_f32_e32 v48, v48, v59
	v_add_f32_e32 v45, v56, v45
	v_mov_b32_e32 v56, v47
	v_add_f32_e32 v43, v43, v46
	v_fma_f32 v46, v23, s10, -v47
	v_mul_f32_e32 v47, 0x3f7e222b, v19
	v_add_f32_e32 v51, v51, v58
	v_add_f32_e32 v46, v46, v48
	v_fma_f32 v48, v22, s6, -v47
	v_add_f32_e32 v49, v49, v59
	v_add_f32_e32 v50, v50, v58
	v_fmac_f32_e32 v56, 0xbf3f9e67, v23
	v_add_f32_e32 v48, v48, v51
	v_mul_f32_e32 v51, 0x3f7e222b, v18
	v_fmac_f32_e32 v47, 0x3df6dbef, v22
	v_mul_f32_e32 v19, 0x3eedf032, v19
	v_add_f32_e32 v52, v52, v59
	v_add_f32_e32 v13, v13, v58
	v_add_f32_e32 v49, v56, v49
	v_mov_b32_e32 v56, v51
	v_add_f32_e32 v47, v47, v50
	v_fma_f32 v50, v23, s6, -v51
	v_fma_f32 v51, v22, s8, -v19
	v_mul_f32_e32 v18, 0x3eedf032, v18
	v_fmac_f32_e32 v19, 0x3f62ad3f, v22
	v_add_f32_e32 v10, v10, v59
	v_add_f32_e32 v50, v50, v52
	v_mov_b32_e32 v52, v18
	v_add_f32_e32 v13, v19, v13
	v_fma_f32 v18, v23, s8, -v18
	v_add_f32_e32 v19, v41, v17
	v_sub_f32_e32 v17, v41, v17
	v_add_f32_e32 v10, v18, v10
	v_add_f32_e32 v18, v40, v16
	v_mul_f32_e32 v22, 0xbf7e222b, v17
	v_fmac_f32_e32 v56, 0x3df6dbef, v23
	v_fmac_f32_e32 v52, 0x3f62ad3f, v23
	v_sub_f32_e32 v16, v40, v16
	v_fma_f32 v23, v18, s6, -v22
	v_add_f32_e32 v21, v23, v21
	v_mul_f32_e32 v23, 0xbf7e222b, v16
	v_fmac_f32_e32 v22, 0x3df6dbef, v18
	v_mov_b32_e32 v40, v23
	v_add_f32_e32 v20, v22, v20
	v_fma_f32 v22, v19, s6, -v23
	v_mul_f32_e32 v23, 0xbe750f2a, v17
	v_add_f32_e32 v22, v22, v24
	v_fma_f32 v24, v18, s11, -v23
	v_fmac_f32_e32 v40, 0x3df6dbef, v19
	v_add_f32_e32 v24, v24, v35
	v_mul_f32_e32 v35, 0xbe750f2a, v16
	v_fmac_f32_e32 v23, 0xbf788fa5, v18
	v_add_f32_e32 v25, v40, v25
	v_mov_b32_e32 v40, v35
	v_add_f32_e32 v23, v23, v34
	v_fma_f32 v34, v19, s11, -v35
	v_mul_f32_e32 v35, 0x3f6f5d39, v17
	v_add_f32_e32 v34, v34, v36
	v_fma_f32 v36, v18, s9, -v35
	v_fmac_f32_e32 v40, 0xbf788fa5, v19
	v_add_f32_e32 v36, v36, v39
	v_mul_f32_e32 v39, 0x3f6f5d39, v16
	v_fmac_f32_e32 v35, 0xbeb58ec6, v18
	v_add_f32_e32 v37, v40, v37
	v_mov_b32_e32 v40, v39
	v_add_f32_e32 v35, v35, v38
	v_fma_f32 v38, v19, s9, -v39
	v_mul_f32_e32 v39, 0x3eedf032, v17
	v_fma_f32 v41, v18, s8, -v39
	v_fmac_f32_e32 v39, 0x3f62ad3f, v18
	v_fmac_f32_e32 v40, 0xbeb58ec6, v19
	v_add_f32_e32 v38, v38, v42
	v_mul_f32_e32 v42, 0x3eedf032, v16
	v_add_f32_e32 v39, v39, v43
	v_mul_f32_e32 v43, 0xbf52af12, v17
	v_add_f32_e32 v40, v40, v45
	v_add_f32_e32 v41, v41, v44
	v_mov_b32_e32 v44, v42
	v_fma_f32 v42, v19, s8, -v42
	v_fma_f32 v45, v18, s7, -v43
	v_fmac_f32_e32 v43, 0x3f116cb1, v18
	v_mul_f32_e32 v17, 0xbf29c268, v17
	v_fmac_f32_e32 v44, 0x3f62ad3f, v19
	v_add_f32_e32 v42, v42, v46
	v_mul_f32_e32 v46, 0xbf52af12, v16
	v_add_f32_e32 v43, v43, v47
	v_fma_f32 v47, v18, s10, -v17
	v_mul_f32_e32 v16, 0xbf29c268, v16
	v_fmac_f32_e32 v17, 0xbf3f9e67, v18
	v_add_f32_e32 v44, v44, v49
	v_mov_b32_e32 v49, v16
	v_add_f32_e32 v13, v17, v13
	v_fma_f32 v16, v19, s10, -v16
	v_add_f32_e32 v17, v60, v15
	v_sub_f32_e32 v15, v60, v15
	v_add_f32_e32 v45, v45, v48
	v_mov_b32_e32 v48, v46
	v_add_f32_e32 v10, v16, v10
	v_add_f32_e32 v16, v62, v14
	v_mul_f32_e32 v18, 0xbf6f5d39, v15
	v_fmac_f32_e32 v48, 0x3f116cb1, v19
	v_fma_f32 v46, v19, s7, -v46
	v_fmac_f32_e32 v49, 0xbf3f9e67, v19
	v_sub_f32_e32 v14, v62, v14
	v_fma_f32 v19, v16, s9, -v18
	v_add_f32_e32 v19, v19, v21
	v_mul_f32_e32 v21, 0xbf6f5d39, v14
	v_fmac_f32_e32 v18, 0xbeb58ec6, v16
	v_add_f32_e32 v46, v46, v50
	v_mov_b32_e32 v50, v21
	v_add_f32_e32 v18, v18, v20
	v_fma_f32 v20, v17, s9, -v21
	v_mul_f32_e32 v21, 0x3f29c268, v15
	v_add_f32_e32 v20, v20, v22
	v_fma_f32 v22, v16, s10, -v21
	v_fmac_f32_e32 v50, 0xbeb58ec6, v17
	v_add_f32_e32 v22, v22, v24
	v_mul_f32_e32 v24, 0x3f29c268, v14
	v_fmac_f32_e32 v21, 0xbf3f9e67, v16
	v_add_f32_e32 v25, v50, v25
	v_mov_b32_e32 v50, v24
	v_add_f32_e32 v21, v21, v23
	v_fma_f32 v23, v17, s10, -v24
	v_mul_f32_e32 v24, 0x3eedf032, v15
	v_add_f32_e32 v23, v23, v34
	v_fma_f32 v34, v16, s8, -v24
	v_fmac_f32_e32 v50, 0xbf3f9e67, v17
	;; [unrolled: 11-line block ×3, first 2 shown]
	v_add_f32_e32 v38, v38, v41
	v_mul_f32_e32 v41, 0xbf7e222b, v14
	v_fmac_f32_e32 v36, 0x3df6dbef, v16
	v_add_f32_e32 v40, v50, v40
	v_mov_b32_e32 v50, v41
	v_add_f32_e32 v36, v36, v39
	v_fma_f32 v39, v17, s6, -v41
	v_mul_f32_e32 v41, 0x3e750f2a, v15
	v_add_f32_e32 v39, v39, v42
	v_fma_f32 v42, v16, s11, -v41
	v_add_f32_e32 v42, v42, v45
	v_mul_f32_e32 v45, 0x3e750f2a, v14
	v_fmac_f32_e32 v41, 0xbf788fa5, v16
	v_fmac_f32_e32 v50, 0x3df6dbef, v17
	v_add_f32_e32 v41, v41, v43
	v_fma_f32 v43, v17, s11, -v45
	v_mul_f32_e32 v15, 0x3f52af12, v15
	v_mul_f32_e32 v14, 0x3f52af12, v14
	v_add_f32_e32 v44, v50, v44
	v_mov_b32_e32 v50, v45
	v_add_f32_e32 v43, v43, v46
	v_fma_f32 v45, v16, s7, -v15
	v_mov_b32_e32 v46, v14
	v_fmac_f32_e32 v15, 0x3f116cb1, v16
	v_fma_f32 v14, v17, s7, -v14
	v_add_f32_e32 v13, v15, v13
	v_add_f32_e32 v10, v14, v10
	;; [unrolled: 1-line block ×4, first 2 shown]
	v_sub_f32_e32 v7, v7, v9
	v_sub_f32_e32 v6, v6, v8
	v_mul_f32_e32 v8, 0xbf29c268, v6
	v_mul_f32_e32 v16, 0xbf29c268, v7
	v_fmac_f32_e32 v50, 0xbf788fa5, v17
	v_fmac_f32_e32 v46, 0x3f116cb1, v17
	v_fma_f32 v9, v14, s10, -v8
	v_mov_b32_e32 v17, v16
	v_fmac_f32_e32 v8, 0xbf3f9e67, v14
	v_fma_f32 v16, v15, s10, -v16
	v_fmac_f32_e32 v17, 0xbf3f9e67, v15
	v_add_f32_e32 v8, v8, v18
	v_add_f32_e32 v18, v16, v20
	v_mul_f32_e32 v16, 0x3f7e222b, v6
	v_add_f32_e32 v9, v9, v19
	v_add_f32_e32 v19, v17, v25
	v_fma_f32 v17, v14, s6, -v16
	v_add_f32_e32 v20, v17, v22
	v_mul_f32_e32 v17, 0x3f7e222b, v7
	v_mov_b32_e32 v22, v17
	v_fmac_f32_e32 v16, 0x3df6dbef, v14
	v_add_f32_e32 v54, v54, v58
	v_fmac_f32_e32 v22, 0x3df6dbef, v15
	v_add_f32_e32 v21, v16, v21
	v_fma_f32 v16, v15, s6, -v17
	v_add_f32_e32 v55, v55, v59
	v_add_f32_e32 v51, v51, v54
	;; [unrolled: 1-line block ×4, first 2 shown]
	v_mul_f32_e32 v16, 0xbf52af12, v6
	v_add_f32_e32 v53, v53, v59
	v_add_f32_e32 v52, v52, v55
	v_add_f32_e32 v47, v47, v51
	v_fma_f32 v17, v14, s7, -v16
	v_add_f32_e32 v53, v56, v53
	v_add_f32_e32 v49, v49, v52
	;; [unrolled: 1-line block ×4, first 2 shown]
	v_mul_f32_e32 v17, 0xbf52af12, v7
	v_fmac_f32_e32 v16, 0x3f116cb1, v14
	v_add_f32_e32 v48, v48, v53
	v_add_f32_e32 v46, v46, v49
	;; [unrolled: 1-line block ×3, first 2 shown]
	v_fma_f32 v16, v15, s7, -v17
	v_add_f32_e32 v48, v50, v48
	v_add_f32_e32 v50, v16, v35
	v_mul_f32_e32 v16, 0x3e750f2a, v6
	v_mov_b32_e32 v23, v17
	v_fma_f32 v17, v14, s11, -v16
	v_add_f32_e32 v38, v17, v38
	v_mul_f32_e32 v17, 0x3e750f2a, v7
	v_fmac_f32_e32 v16, 0xbf788fa5, v14
	v_add_f32_e32 v51, v16, v36
	v_fma_f32 v16, v15, s11, -v17
	v_fmac_f32_e32 v23, 0x3f116cb1, v15
	v_add_f32_e32 v39, v16, v39
	v_mul_f32_e32 v16, 0x3eedf032, v6
	v_add_f32_e32 v40, v23, v40
	v_mov_b32_e32 v23, v17
	v_fma_f32 v17, v14, s8, -v16
	v_add_f32_e32 v42, v17, v42
	v_mul_f32_e32 v17, 0x3eedf032, v7
	v_fmac_f32_e32 v16, 0x3f62ad3f, v14
	v_add_f32_e32 v41, v16, v41
	v_fma_f32 v16, v15, s8, -v17
	v_mul_f32_e32 v6, 0xbf6f5d39, v6
	v_add_f32_e32 v43, v16, v43
	v_fma_f32 v16, v14, s9, -v6
	v_mul_f32_e32 v7, 0xbf6f5d39, v7
	v_add_f32_e32 v45, v16, v45
	v_mov_b32_e32 v16, v7
	v_fmac_f32_e32 v6, 0xbeb58ec6, v14
	v_fmac_f32_e32 v16, 0xbeb58ec6, v15
	v_add_f32_e32 v13, v6, v13
	v_fma_f32 v6, v15, s9, -v7
	v_sub_f32_e32 v53, v3, v5
	v_add_f32_e32 v46, v16, v46
	v_add_f32_e32 v16, v6, v10
	;; [unrolled: 1-line block ×3, first 2 shown]
	v_sub_f32_e32 v10, v2, v4
	v_mul_f32_e32 v2, 0xbe750f2a, v53
	v_fmac_f32_e32 v23, 0xbf788fa5, v15
	v_add_f32_e32 v35, v3, v5
	v_fma_f32 v3, v52, s11, -v2
	v_add_f32_e32 v44, v23, v44
	v_mov_b32_e32 v23, v17
	v_add_f32_e32 v17, v3, v9
	v_mul_f32_e32 v3, 0xbe750f2a, v10
	v_mov_b32_e32 v4, v3
	v_fmac_f32_e32 v4, 0xbf788fa5, v35
	v_add_f32_e32 v36, v4, v19
	v_fmac_f32_e32 v2, 0xbf788fa5, v52
	v_mul_f32_e32 v4, 0x3eedf032, v10
	v_add_f32_e32 v25, v2, v8
	v_fma_f32 v2, v35, s11, -v3
	v_mul_f32_e32 v3, 0x3eedf032, v53
	v_mov_b32_e32 v5, v4
	v_fmac_f32_e32 v23, 0x3f62ad3f, v15
	v_add_f32_e32 v34, v2, v18
	v_fma_f32 v2, v52, s8, -v3
	v_fmac_f32_e32 v5, 0x3f62ad3f, v35
	v_fmac_f32_e32 v3, 0x3f62ad3f, v52
	v_add_f32_e32 v48, v23, v48
	v_add_f32_e32 v14, v5, v22
	;; [unrolled: 1-line block ×3, first 2 shown]
	v_fma_f32 v3, v35, s8, -v4
	v_mul_f32_e32 v5, 0xbf29c268, v53
	v_add_f32_e32 v24, v3, v37
	v_fma_f32 v3, v52, s10, -v5
	v_mul_f32_e32 v6, 0xbf29c268, v10
	v_fmac_f32_e32 v5, 0xbf3f9e67, v52
	v_add_f32_e32 v21, v5, v49
	v_fma_f32 v5, v35, s10, -v6
	v_mul_f32_e32 v7, 0x3f52af12, v53
	v_add_f32_e32 v22, v5, v50
	v_fma_f32 v5, v52, s7, -v7
	v_mul_f32_e32 v8, 0x3f52af12, v10
	v_fmac_f32_e32 v7, 0x3f116cb1, v52
	v_add_f32_e32 v19, v7, v51
	v_fma_f32 v7, v35, s7, -v8
	v_mul_f32_e32 v9, 0xbf6f5d39, v53
	v_add_f32_e32 v2, v2, v20
	v_add_f32_e32 v20, v7, v39
	v_fma_f32 v7, v52, s9, -v9
	v_mul_f32_e32 v18, 0xbf6f5d39, v10
	v_fmac_f32_e32 v9, 0xbeb58ec6, v52
	v_add_f32_e32 v5, v5, v38
	v_add_f32_e32 v15, v9, v41
	v_fma_f32 v9, v35, s9, -v18
	v_mul_f32_e32 v37, 0x3f7e222b, v53
	v_mul_f32_e32 v38, 0x3f7e222b, v10
	v_mov_b32_e32 v4, v6
	v_mov_b32_e32 v6, v8
	v_mov_b32_e32 v8, v18
	v_add_f32_e32 v18, v9, v43
	v_fma_f32 v9, v52, s6, -v37
	v_mov_b32_e32 v10, v38
	v_fmac_f32_e32 v37, 0x3df6dbef, v52
	v_fmac_f32_e32 v4, 0xbf3f9e67, v35
	;; [unrolled: 1-line block ×5, first 2 shown]
	v_add_f32_e32 v37, v37, v13
	v_fma_f32 v13, v35, s6, -v38
	v_mul_lo_u32 v35, v11, 13
	v_add_f32_e32 v38, v13, v16
	v_and_b32_e32 v13, 63, v12
	v_lshrrev_b32_e32 v16, 3, v12
	v_lshrrev_b32_e32 v11, 9, v12
	v_lshl_add_u32 v13, v13, 3, 0
	v_and_b32_e32 v16, 0x1f8, v16
	s_add_i32 s6, 0, 0x3f60
	v_and_b32_e32 v11, 0x1f8, v11
	v_add_f32_e32 v4, v4, v40
	v_add_f32_e32 v9, v9, v45
	v_add_u32_e32 v16, s6, v16
	v_add_u32_e32 v41, s6, v11
	;; [unrolled: 1-line block ×3, first 2 shown]
	ds_read_b64 v[11:12], v13 offset:16224
	ds_read_b64 v[39:40], v16 offset:512
	v_and_b32_e32 v13, 63, v45
	v_add_f32_e32 v6, v6, v44
	v_add_f32_e32 v7, v7, v42
	v_lshl_add_u32 v13, v13, 3, 0
	ds_read_b64 v[41:42], v41 offset:1024
	ds_read_b64 v[43:44], v13 offset:16224
	s_waitcnt lgkmcnt(2)
	v_mul_f32_e32 v13, v12, v40
	v_fma_f32 v13, v11, v39, -v13
	v_mul_f32_e32 v11, v11, v40
	v_fmac_f32_e32 v11, v12, v39
	s_waitcnt lgkmcnt(1)
	v_mul_f32_e32 v12, v11, v42
	v_fma_f32 v16, v41, v13, -v12
	v_mul_f32_e32 v13, v13, v42
	v_fmac_f32_e32 v13, v41, v11
	v_mul_f32_e32 v11, v1, v13
	v_mul_f32_e32 v13, v0, v13
	v_fmac_f32_e32 v13, v1, v16
	v_lshrrev_b32_e32 v1, 9, v45
	v_add_f32_e32 v3, v3, v47
	v_fma_f32 v12, v0, v16, -v11
	v_lshrrev_b32_e32 v0, 3, v45
	v_and_b32_e32 v1, 0x1f8, v1
	v_add_u32_e32 v47, v45, v35
	v_and_b32_e32 v0, 0x1f8, v0
	v_add_u32_e32 v11, s6, v1
	;; [unrolled: 2-line block ×3, first 2 shown]
	v_lshl_add_u32 v16, v1, 3, 0
	v_lshrrev_b32_e32 v1, 3, v47
	v_and_b32_e32 v39, 0x1f8, v1
	ds_read_b64 v[0:1], v0 offset:512
	v_add_u32_e32 v45, s6, v39
	v_add_f32_e32 v10, v10, v46
	ds_read_b64 v[39:40], v11 offset:1024
	ds_read_b64 v[41:42], v16 offset:16224
	;; [unrolled: 1-line block ×3, first 2 shown]
	v_add_f32_e32 v8, v8, v48
	s_waitcnt lgkmcnt(3)
	v_mul_f32_e32 v11, v44, v1
	v_mul_f32_e32 v1, v43, v1
	v_fmac_f32_e32 v1, v44, v0
	v_fma_f32 v11, v43, v0, -v11
	s_waitcnt lgkmcnt(2)
	v_mul_f32_e32 v0, v1, v40
	v_fma_f32 v0, v39, v11, -v0
	v_mul_f32_e32 v11, v11, v40
	v_fmac_f32_e32 v11, v39, v1
	v_mul_f32_e32 v1, v36, v11
	v_fma_f32 v16, v17, v0, -v1
	v_mul_f32_e32 v17, v17, v11
	v_fmac_f32_e32 v17, v36, v0
	s_waitcnt lgkmcnt(0)
	v_mul_f32_e32 v0, v42, v46
	v_mul_f32_e32 v36, v41, v46
	v_fma_f32 v11, v41, v45, -v0
	v_fmac_f32_e32 v36, v42, v45
	v_add_u32_e32 v45, v47, v35
	v_and_b32_e32 v1, 63, v45
	v_lshrrev_b32_e32 v0, 9, v47
	v_lshl_add_u32 v39, v1, 3, 0
	v_lshrrev_b32_e32 v1, 3, v45
	v_and_b32_e32 v0, 0x1f8, v0
	v_and_b32_e32 v1, 0x1f8, v1
	v_add_u32_e32 v0, s6, v0
	v_add_u32_e32 v41, s6, v1
	v_lshrrev_b32_e32 v1, 9, v45
	v_and_b32_e32 v40, 0x1f8, v1
	ds_read_b64 v[0:1], v0 offset:1024
	v_add_u32_e32 v43, s6, v40
	ds_read_b64 v[39:40], v39 offset:16224
	ds_read_b64 v[41:42], v41 offset:512
	;; [unrolled: 1-line block ×3, first 2 shown]
	s_waitcnt lgkmcnt(3)
	v_mul_f32_e32 v46, v36, v1
	v_mul_f32_e32 v1, v11, v1
	v_fmac_f32_e32 v1, v0, v36
	v_fma_f32 v46, v0, v11, -v46
	v_mul_f32_e32 v0, v14, v1
	v_fma_f32 v0, v2, v46, -v0
	v_mul_f32_e32 v1, v2, v1
	s_waitcnt lgkmcnt(1)
	v_mul_f32_e32 v2, v40, v42
	v_fma_f32 v2, v39, v41, -v2
	v_mul_f32_e32 v11, v39, v42
	v_fmac_f32_e32 v11, v40, v41
	s_waitcnt lgkmcnt(0)
	v_mul_f32_e32 v36, v2, v44
	v_fmac_f32_e32 v1, v14, v46
	v_mul_f32_e32 v14, v11, v44
	v_fmac_f32_e32 v36, v43, v11
	v_fma_f32 v14, v43, v2, -v14
	v_mul_f32_e32 v2, v4, v36
	v_fma_f32 v2, v3, v14, -v2
	v_mul_f32_e32 v3, v3, v36
	v_fmac_f32_e32 v3, v4, v14
	v_add_u32_e32 v4, v45, v35
	v_and_b32_e32 v11, 63, v4
	v_lshrrev_b32_e32 v14, 3, v4
	v_lshl_add_u32 v11, v11, 3, 0
	v_and_b32_e32 v14, 0x1f8, v14
	v_add_u32_e32 v14, s6, v14
	v_lshrrev_b32_e32 v36, 9, v4
	ds_read_b64 v[39:40], v11 offset:16224
	ds_read_b64 v[41:42], v14 offset:512
	v_and_b32_e32 v36, 0x1f8, v36
	v_add_u32_e32 v47, v4, v35
	v_add_u32_e32 v36, s6, v36
	v_and_b32_e32 v4, 63, v47
	v_lshl_add_u32 v4, v4, 3, 0
	ds_read_b64 v[43:44], v36 offset:1024
	ds_read_b64 v[45:46], v4 offset:16224
	s_waitcnt lgkmcnt(2)
	v_mul_f32_e32 v4, v40, v42
	v_fma_f32 v4, v39, v41, -v4
	v_mul_f32_e32 v11, v39, v42
	v_fmac_f32_e32 v11, v40, v41
	s_waitcnt lgkmcnt(1)
	v_mul_f32_e32 v36, v4, v44
	v_mul_f32_e32 v14, v11, v44
	v_fmac_f32_e32 v36, v43, v11
	v_fma_f32 v14, v43, v4, -v14
	v_mul_f32_e32 v4, v6, v36
	v_fma_f32 v4, v5, v14, -v4
	v_mul_f32_e32 v5, v5, v36
	v_fmac_f32_e32 v5, v6, v14
	v_lshrrev_b32_e32 v6, 3, v47
	v_and_b32_e32 v6, 0x1f8, v6
	v_add_u32_e32 v14, v47, v35
	v_add_u32_e32 v6, s6, v6
	v_lshrrev_b32_e32 v39, 3, v14
	v_and_b32_e32 v41, 0x1f8, v39
	ds_read_b64 v[39:40], v6 offset:512
	v_lshrrev_b32_e32 v11, 9, v47
	v_and_b32_e32 v11, 0x1f8, v11
	v_add_u32_e32 v11, s6, v11
	v_and_b32_e32 v36, 63, v14
	v_lshl_add_u32 v36, v36, 3, 0
	v_add_u32_e32 v6, s6, v41
	ds_read_b64 v[41:42], v11 offset:1024
	ds_read_b64 v[43:44], v36 offset:16224
	;; [unrolled: 1-line block ×3, first 2 shown]
	s_waitcnt lgkmcnt(3)
	v_mul_f32_e32 v6, v46, v40
	v_fma_f32 v6, v45, v39, -v6
	v_mul_f32_e32 v11, v45, v40
	v_fmac_f32_e32 v11, v46, v39
	s_waitcnt lgkmcnt(2)
	v_mul_f32_e32 v39, v6, v42
	v_mul_f32_e32 v36, v11, v42
	v_fmac_f32_e32 v39, v41, v11
	v_fma_f32 v36, v41, v6, -v36
	v_mul_f32_e32 v6, v8, v39
	v_fma_f32 v6, v7, v36, -v6
	v_mul_f32_e32 v7, v7, v39
	v_fmac_f32_e32 v7, v8, v36
	v_lshrrev_b32_e32 v36, 9, v14
	v_add_u32_e32 v14, v14, v35
	v_and_b32_e32 v39, 63, v14
	v_lshl_add_u32 v41, v39, 3, 0
	v_lshrrev_b32_e32 v39, 3, v14
	s_waitcnt lgkmcnt(0)
	v_mul_f32_e32 v8, v44, v48
	v_and_b32_e32 v36, 0x1f8, v36
	v_and_b32_e32 v39, 0x1f8, v39
	v_fma_f32 v8, v43, v47, -v8
	v_mul_f32_e32 v11, v43, v48
	v_add_u32_e32 v36, s6, v36
	v_add_u32_e32 v43, s6, v39
	v_lshrrev_b32_e32 v39, 9, v14
	v_and_b32_e32 v42, 0x1f8, v39
	ds_read_b64 v[39:40], v36 offset:1024
	v_fmac_f32_e32 v11, v44, v47
	v_add_u32_e32 v36, s6, v42
	ds_read_b64 v[41:42], v41 offset:16224
	ds_read_b64 v[43:44], v43 offset:512
	;; [unrolled: 1-line block ×3, first 2 shown]
	v_add_u32_e32 v14, v14, v35
	s_waitcnt lgkmcnt(3)
	v_mul_f32_e32 v36, v11, v40
	v_mul_f32_e32 v40, v8, v40
	v_fmac_f32_e32 v40, v39, v11
	v_fma_f32 v36, v39, v8, -v36
	v_mul_f32_e32 v8, v10, v40
	v_fma_f32 v8, v9, v36, -v8
	v_mul_f32_e32 v9, v9, v40
	v_fmac_f32_e32 v9, v10, v36
	s_waitcnt lgkmcnt(1)
	v_mul_f32_e32 v10, v42, v44
	v_fma_f32 v10, v41, v43, -v10
	v_mul_f32_e32 v11, v41, v44
	v_fmac_f32_e32 v11, v42, v43
	s_waitcnt lgkmcnt(0)
	v_mul_f32_e32 v39, v10, v46
	v_mul_f32_e32 v36, v11, v46
	v_fmac_f32_e32 v39, v45, v11
	v_fma_f32 v36, v45, v10, -v36
	v_mul_f32_e32 v10, v38, v39
	v_fma_f32 v10, v37, v36, -v10
	v_mul_f32_e32 v11, v37, v39
	v_lshrrev_b32_e32 v37, 3, v14
	v_and_b32_e32 v37, 0x1f8, v37
	v_fmac_f32_e32 v11, v38, v36
	v_and_b32_e32 v36, 63, v14
	v_add_u32_e32 v38, s6, v37
	v_lshrrev_b32_e32 v37, 9, v14
	v_lshl_add_u32 v36, v36, 3, 0
	v_and_b32_e32 v37, 0x1f8, v37
	v_add_u32_e32 v40, s6, v37
	ds_read_b64 v[36:37], v36 offset:16224
	ds_read_b64 v[38:39], v38 offset:512
	v_add_u32_e32 v44, v14, v35
	v_and_b32_e32 v14, 63, v44
	v_lshl_add_u32 v14, v14, 3, 0
	ds_read_b64 v[40:41], v40 offset:1024
	ds_read_b64 v[42:43], v14 offset:16224
	s_waitcnt lgkmcnt(2)
	v_mul_f32_e32 v14, v37, v39
	v_fma_f32 v14, v36, v38, -v14
	v_mul_f32_e32 v36, v36, v39
	v_fmac_f32_e32 v36, v37, v38
	s_waitcnt lgkmcnt(1)
	v_mul_f32_e32 v38, v14, v41
	v_mul_f32_e32 v37, v36, v41
	v_fmac_f32_e32 v38, v40, v36
	v_fma_f32 v37, v40, v14, -v37
	v_mul_f32_e32 v14, v18, v38
	v_fma_f32 v14, v15, v37, -v14
	v_mul_f32_e32 v15, v15, v38
	v_lshrrev_b32_e32 v36, 9, v44
	v_fmac_f32_e32 v15, v18, v37
	v_lshrrev_b32_e32 v18, 3, v44
	v_and_b32_e32 v36, 0x1f8, v36
	v_add_u32_e32 v46, v44, v35
	v_and_b32_e32 v18, 0x1f8, v18
	v_add_u32_e32 v38, s6, v36
	;; [unrolled: 2-line block ×3, first 2 shown]
	v_lshl_add_u32 v40, v36, 3, 0
	v_lshrrev_b32_e32 v36, 3, v46
	v_and_b32_e32 v39, 0x1f8, v36
	ds_read_b64 v[36:37], v18 offset:512
	v_add_u32_e32 v18, s6, v39
	ds_read_b64 v[38:39], v38 offset:1024
	ds_read_b64 v[40:41], v40 offset:16224
	;; [unrolled: 1-line block ×3, first 2 shown]
	s_waitcnt lgkmcnt(3)
	v_mul_f32_e32 v18, v43, v37
	v_mul_f32_e32 v37, v42, v37
	v_fma_f32 v18, v42, v36, -v18
	v_fmac_f32_e32 v37, v43, v36
	s_waitcnt lgkmcnt(2)
	v_mul_f32_e32 v36, v37, v39
	v_mul_f32_e32 v39, v18, v39
	v_fmac_f32_e32 v39, v38, v37
	v_fma_f32 v36, v38, v18, -v36
	v_mul_f32_e32 v18, v20, v39
	v_fma_f32 v18, v19, v36, -v18
	v_mul_f32_e32 v19, v19, v39
	v_fmac_f32_e32 v19, v20, v36
	s_waitcnt lgkmcnt(0)
	v_mul_f32_e32 v20, v41, v45
	v_mul_f32_e32 v45, v40, v45
	v_fma_f32 v20, v40, v44, -v20
	v_fmac_f32_e32 v45, v41, v44
	v_add_u32_e32 v44, v46, v35
	v_and_b32_e32 v37, 63, v44
	v_lshrrev_b32_e32 v36, 9, v46
	v_lshl_add_u32 v38, v37, 3, 0
	v_lshrrev_b32_e32 v37, 3, v44
	v_and_b32_e32 v36, 0x1f8, v36
	v_and_b32_e32 v37, 0x1f8, v37
	v_add_u32_e32 v36, s6, v36
	v_add_u32_e32 v40, s6, v37
	v_lshrrev_b32_e32 v37, 9, v44
	v_and_b32_e32 v39, 0x1f8, v37
	ds_read_b64 v[36:37], v36 offset:1024
	v_add_u32_e32 v42, s6, v39
	ds_read_b64 v[38:39], v38 offset:16224
	ds_read_b64 v[40:41], v40 offset:512
	;; [unrolled: 1-line block ×3, first 2 shown]
	s_waitcnt lgkmcnt(3)
	v_mul_f32_e32 v46, v45, v37
	v_mul_f32_e32 v37, v20, v37
	v_fmac_f32_e32 v37, v36, v45
	v_fma_f32 v46, v36, v20, -v46
	v_mul_f32_e32 v20, v22, v37
	v_fma_f32 v20, v21, v46, -v20
	v_mul_f32_e32 v21, v21, v37
	v_fmac_f32_e32 v21, v22, v46
	s_waitcnt lgkmcnt(1)
	v_mul_f32_e32 v22, v39, v41
	v_fma_f32 v22, v38, v40, -v22
	v_mul_f32_e32 v36, v38, v41
	v_fmac_f32_e32 v36, v39, v40
	s_waitcnt lgkmcnt(0)
	v_mul_f32_e32 v38, v22, v43
	v_mul_f32_e32 v37, v36, v43
	v_fmac_f32_e32 v38, v42, v36
	v_fma_f32 v37, v42, v22, -v37
	v_mul_f32_e32 v22, v24, v38
	v_fma_f32 v22, v23, v37, -v22
	v_mul_f32_e32 v23, v23, v38
	v_fmac_f32_e32 v23, v24, v37
	v_add_u32_e32 v24, v44, v35
	v_lshrrev_b32_e32 v36, 3, v24
	v_and_b32_e32 v35, 63, v24
	v_and_b32_e32 v36, 0x1f8, v36
	v_lshl_add_u32 v35, v35, 3, 0
	v_add_u32_e32 v37, s6, v36
	v_lshrrev_b32_e32 v24, 9, v24
	ds_read_b64 v[35:36], v35 offset:16224
	ds_read_b64 v[37:38], v37 offset:512
	v_and_b32_e32 v24, 0x1f8, v24
	v_add_u32_e32 v24, s6, v24
	ds_read_b64 v[39:40], v24 offset:1024
	s_waitcnt lgkmcnt(0)
	v_mul_f32_e32 v24, v36, v38
	v_fma_f32 v24, v35, v37, -v24
	v_mul_f32_e32 v35, v35, v38
	v_fmac_f32_e32 v35, v36, v37
	v_mul_f32_e32 v37, v24, v40
	v_mul_f32_e32 v36, v35, v40
	v_fmac_f32_e32 v37, v39, v35
	v_fma_f32 v36, v39, v24, -v36
	v_mul_f32_e32 v24, v34, v37
	v_fma_f32 v24, v25, v36, -v24
	v_mul_f32_e32 v25, v25, v37
	v_fmac_f32_e32 v25, v34, v36
	s_barrier
	ds_write2_b64 v33, v[12:13], v[16:17] offset1:13
	ds_write2_b64 v33, v[0:1], v[2:3] offset0:26 offset1:39
	ds_write2_b64 v33, v[4:5], v[6:7] offset0:52 offset1:65
	;; [unrolled: 1-line block ×5, first 2 shown]
	ds_write_b64 v33, v[24:25] offset:1248
	s_waitcnt lgkmcnt(0)
	s_barrier
	s_and_saveexec_b64 s[6:7], s[0:1]
	s_cbranch_execz .LBB0_19
; %bb.18:
	v_mad_u64_u32 v[4:5], s[0:1], s18, v31, 0
	v_mad_u64_u32 v[6:7], s[0:1], s16, v26, 0
	v_mov_b32_e32 v0, v5
	v_mad_u64_u32 v[0:1], s[0:1], s19, v31, v[0:1]
	v_mov_b32_e32 v1, v7
	v_mad_u64_u32 v[1:2], s[0:1], s17, v26, v[1:2]
	s_movk_i32 s0, 0x548
	v_mul_lo_u32 v2, v31, s0
	v_mov_b32_e32 v5, v0
	s_lshl_b64 s[0:1], s[4:5], 3
	s_add_u32 s0, s2, s0
	v_lshlrev_b64 v[4:5], 3, v[4:5]
	s_addc_u32 s1, s3, s1
	v_mov_b32_e32 v7, v1
	v_mov_b32_e32 v8, s1
	v_add_co_u32_e32 v11, vcc, s0, v4
	v_addc_co_u32_e32 v12, vcc, v8, v5, vcc
	v_lshlrev_b64 v[4:5], 3, v[6:7]
	v_mad_u64_u32 v[6:7], s[0:1], s16, v30, 0
	v_add3_u32 v10, 0, v2, v32
	ds_read2_b64 v[0:3], v10 offset1:13
	v_mad_u64_u32 v[7:8], s[0:1], s17, v30, v[7:8]
	v_mad_u64_u32 v[8:9], s[0:1], s16, v29, 0
	v_add_co_u32_e32 v4, vcc, v11, v4
	v_addc_co_u32_e32 v5, vcc, v12, v5, vcc
	s_waitcnt lgkmcnt(0)
	global_store_dwordx2 v[4:5], v[0:1], off
	v_mov_b32_e32 v4, v9
	v_mad_u64_u32 v[4:5], s[0:1], s17, v29, v[4:5]
	v_lshlrev_b64 v[0:1], 3, v[6:7]
	v_mad_u64_u32 v[6:7], s[0:1], s16, v28, 0
	v_add_co_u32_e32 v0, vcc, v11, v0
	v_addc_co_u32_e32 v1, vcc, v12, v1, vcc
	v_mov_b32_e32 v9, v4
	global_store_dwordx2 v[0:1], v[2:3], off
	ds_read2_b64 v[0:3], v10 offset0:26 offset1:39
	v_lshlrev_b64 v[4:5], 3, v[8:9]
	v_mad_u64_u32 v[7:8], s[0:1], s17, v28, v[7:8]
	v_mad_u64_u32 v[8:9], s[0:1], s16, v27, 0
	v_add_co_u32_e32 v4, vcc, v11, v4
	v_addc_co_u32_e32 v5, vcc, v12, v5, vcc
	s_waitcnt lgkmcnt(0)
	global_store_dwordx2 v[4:5], v[0:1], off
	v_mov_b32_e32 v4, v9
	v_mad_u64_u32 v[4:5], s[0:1], s17, v27, v[4:5]
	v_lshlrev_b64 v[0:1], 3, v[6:7]
	v_add_u32_e32 v13, 0x4e, v26
	v_mov_b32_e32 v9, v4
	v_lshlrev_b64 v[4:5], 3, v[8:9]
	v_add_u32_e32 v8, 0x41, v26
	v_mad_u64_u32 v[6:7], s[0:1], s16, v8, 0
	v_add_co_u32_e32 v0, vcc, v11, v0
	v_addc_co_u32_e32 v1, vcc, v12, v1, vcc
	global_store_dwordx2 v[0:1], v[2:3], off
	ds_read2_b64 v[0:3], v10 offset0:52 offset1:65
	v_mad_u64_u32 v[7:8], s[0:1], s17, v8, v[7:8]
	v_mad_u64_u32 v[8:9], s[0:1], s16, v13, 0
	v_add_co_u32_e32 v4, vcc, v11, v4
	v_addc_co_u32_e32 v5, vcc, v12, v5, vcc
	s_waitcnt lgkmcnt(0)
	global_store_dwordx2 v[4:5], v[0:1], off
	v_mov_b32_e32 v4, v9
	v_mad_u64_u32 v[4:5], s[0:1], s17, v13, v[4:5]
	v_lshlrev_b64 v[0:1], 3, v[6:7]
	v_add_u32_e32 v13, 0x68, v26
	v_mov_b32_e32 v9, v4
	v_lshlrev_b64 v[4:5], 3, v[8:9]
	v_add_u32_e32 v8, 0x5b, v26
	v_mad_u64_u32 v[6:7], s[0:1], s16, v8, 0
	v_add_co_u32_e32 v0, vcc, v11, v0
	v_addc_co_u32_e32 v1, vcc, v12, v1, vcc
	global_store_dwordx2 v[0:1], v[2:3], off
	ds_read2_b64 v[0:3], v10 offset0:78 offset1:91
	;; [unrolled: 18-line block ×4, first 2 shown]
	v_mad_u64_u32 v[7:8], s[0:1], s17, v8, v[7:8]
	v_mad_u64_u32 v[8:9], s[0:1], s16, v13, 0
	v_add_co_u32_e32 v4, vcc, v11, v4
	v_addc_co_u32_e32 v5, vcc, v12, v5, vcc
	s_waitcnt lgkmcnt(0)
	global_store_dwordx2 v[4:5], v[0:1], off
	v_mov_b32_e32 v4, v9
	v_lshlrev_b64 v[0:1], 3, v[6:7]
	v_mad_u64_u32 v[4:5], s[0:1], s17, v13, v[4:5]
	v_add_co_u32_e32 v0, vcc, v11, v0
	v_addc_co_u32_e32 v1, vcc, v12, v1, vcc
	global_store_dwordx2 v[0:1], v[2:3], off
	v_mov_b32_e32 v9, v4
	ds_read_b64 v[0:1], v10 offset:1248
	v_lshlrev_b64 v[2:3], 3, v[8:9]
	v_add_co_u32_e32 v2, vcc, v11, v2
	v_addc_co_u32_e32 v3, vcc, v12, v3, vcc
	s_waitcnt lgkmcnt(0)
	global_store_dwordx2 v[2:3], v[0:1], off
.LBB0_19:
	s_endpgm
	.section	.rodata,"a",@progbits
	.p2align	6, 0x0
	.amdhsa_kernel fft_rtc_fwd_len169_factors_13_13_wgs_156_tpt_13_sp_ip_CI_sbcc_twdbase6_3step
		.amdhsa_group_segment_fixed_size 0
		.amdhsa_private_segment_fixed_size 0
		.amdhsa_kernarg_size 96
		.amdhsa_user_sgpr_count 6
		.amdhsa_user_sgpr_private_segment_buffer 1
		.amdhsa_user_sgpr_dispatch_ptr 0
		.amdhsa_user_sgpr_queue_ptr 0
		.amdhsa_user_sgpr_kernarg_segment_ptr 1
		.amdhsa_user_sgpr_dispatch_id 0
		.amdhsa_user_sgpr_flat_scratch_init 0
		.amdhsa_user_sgpr_private_segment_size 0
		.amdhsa_uses_dynamic_stack 0
		.amdhsa_system_sgpr_private_segment_wavefront_offset 0
		.amdhsa_system_sgpr_workgroup_id_x 1
		.amdhsa_system_sgpr_workgroup_id_y 0
		.amdhsa_system_sgpr_workgroup_id_z 0
		.amdhsa_system_sgpr_workgroup_info 0
		.amdhsa_system_vgpr_workitem_id 0
		.amdhsa_next_free_vgpr 63
		.amdhsa_next_free_sgpr 43
		.amdhsa_reserve_vcc 1
		.amdhsa_reserve_flat_scratch 0
		.amdhsa_float_round_mode_32 0
		.amdhsa_float_round_mode_16_64 0
		.amdhsa_float_denorm_mode_32 3
		.amdhsa_float_denorm_mode_16_64 3
		.amdhsa_dx10_clamp 1
		.amdhsa_ieee_mode 1
		.amdhsa_fp16_overflow 0
		.amdhsa_exception_fp_ieee_invalid_op 0
		.amdhsa_exception_fp_denorm_src 0
		.amdhsa_exception_fp_ieee_div_zero 0
		.amdhsa_exception_fp_ieee_overflow 0
		.amdhsa_exception_fp_ieee_underflow 0
		.amdhsa_exception_fp_ieee_inexact 0
		.amdhsa_exception_int_div_zero 0
	.end_amdhsa_kernel
	.text
.Lfunc_end0:
	.size	fft_rtc_fwd_len169_factors_13_13_wgs_156_tpt_13_sp_ip_CI_sbcc_twdbase6_3step, .Lfunc_end0-fft_rtc_fwd_len169_factors_13_13_wgs_156_tpt_13_sp_ip_CI_sbcc_twdbase6_3step
                                        ; -- End function
	.section	.AMDGPU.csdata,"",@progbits
; Kernel info:
; codeLenInByte = 11536
; NumSgprs: 47
; NumVgprs: 63
; ScratchSize: 0
; MemoryBound: 0
; FloatMode: 240
; IeeeMode: 1
; LDSByteSize: 0 bytes/workgroup (compile time only)
; SGPRBlocks: 5
; VGPRBlocks: 15
; NumSGPRsForWavesPerEU: 47
; NumVGPRsForWavesPerEU: 63
; Occupancy: 4
; WaveLimiterHint : 1
; COMPUTE_PGM_RSRC2:SCRATCH_EN: 0
; COMPUTE_PGM_RSRC2:USER_SGPR: 6
; COMPUTE_PGM_RSRC2:TRAP_HANDLER: 0
; COMPUTE_PGM_RSRC2:TGID_X_EN: 1
; COMPUTE_PGM_RSRC2:TGID_Y_EN: 0
; COMPUTE_PGM_RSRC2:TGID_Z_EN: 0
; COMPUTE_PGM_RSRC2:TIDIG_COMP_CNT: 0
	.type	__hip_cuid_af3b02c408424cc4,@object ; @__hip_cuid_af3b02c408424cc4
	.section	.bss,"aw",@nobits
	.globl	__hip_cuid_af3b02c408424cc4
__hip_cuid_af3b02c408424cc4:
	.byte	0                               ; 0x0
	.size	__hip_cuid_af3b02c408424cc4, 1

	.ident	"AMD clang version 19.0.0git (https://github.com/RadeonOpenCompute/llvm-project roc-6.4.0 25133 c7fe45cf4b819c5991fe208aaa96edf142730f1d)"
	.section	".note.GNU-stack","",@progbits
	.addrsig
	.addrsig_sym __hip_cuid_af3b02c408424cc4
	.amdgpu_metadata
---
amdhsa.kernels:
  - .args:
      - .actual_access:  read_only
        .address_space:  global
        .offset:         0
        .size:           8
        .value_kind:     global_buffer
      - .address_space:  global
        .offset:         8
        .size:           8
        .value_kind:     global_buffer
      - .offset:         16
        .size:           8
        .value_kind:     by_value
      - .actual_access:  read_only
        .address_space:  global
        .offset:         24
        .size:           8
        .value_kind:     global_buffer
      - .actual_access:  read_only
        .address_space:  global
        .offset:         32
        .size:           8
        .value_kind:     global_buffer
      - .offset:         40
        .size:           8
        .value_kind:     by_value
      - .actual_access:  read_only
        .address_space:  global
        .offset:         48
        .size:           8
        .value_kind:     global_buffer
      - .actual_access:  read_only
        .address_space:  global
        .offset:         56
        .size:           8
        .value_kind:     global_buffer
      - .offset:         64
        .size:           4
        .value_kind:     by_value
      - .actual_access:  read_only
        .address_space:  global
        .offset:         72
        .size:           8
        .value_kind:     global_buffer
      - .actual_access:  read_only
        .address_space:  global
        .offset:         80
        .size:           8
        .value_kind:     global_buffer
      - .address_space:  global
        .offset:         88
        .size:           8
        .value_kind:     global_buffer
    .group_segment_fixed_size: 0
    .kernarg_segment_align: 8
    .kernarg_segment_size: 96
    .language:       OpenCL C
    .language_version:
      - 2
      - 0
    .max_flat_workgroup_size: 156
    .name:           fft_rtc_fwd_len169_factors_13_13_wgs_156_tpt_13_sp_ip_CI_sbcc_twdbase6_3step
    .private_segment_fixed_size: 0
    .sgpr_count:     47
    .sgpr_spill_count: 0
    .symbol:         fft_rtc_fwd_len169_factors_13_13_wgs_156_tpt_13_sp_ip_CI_sbcc_twdbase6_3step.kd
    .uniform_work_group_size: 1
    .uses_dynamic_stack: false
    .vgpr_count:     63
    .vgpr_spill_count: 0
    .wavefront_size: 64
amdhsa.target:   amdgcn-amd-amdhsa--gfx906
amdhsa.version:
  - 1
  - 2
...

	.end_amdgpu_metadata
